;; amdgpu-corpus repo=ROCm/rocFFT kind=compiled arch=gfx906 opt=O3
	.text
	.amdgcn_target "amdgcn-amd-amdhsa--gfx906"
	.amdhsa_code_object_version 6
	.protected	fft_rtc_fwd_len208_factors_13_16_wgs_144_tpt_16_half_op_CI_CI_sbcc_twdbase6_3step_dirReg ; -- Begin function fft_rtc_fwd_len208_factors_13_16_wgs_144_tpt_16_half_op_CI_CI_sbcc_twdbase6_3step_dirReg
	.globl	fft_rtc_fwd_len208_factors_13_16_wgs_144_tpt_16_half_op_CI_CI_sbcc_twdbase6_3step_dirReg
	.p2align	8
	.type	fft_rtc_fwd_len208_factors_13_16_wgs_144_tpt_16_half_op_CI_CI_sbcc_twdbase6_3step_dirReg,@function
fft_rtc_fwd_len208_factors_13_16_wgs_144_tpt_16_half_op_CI_CI_sbcc_twdbase6_3step_dirReg: ; @fft_rtc_fwd_len208_factors_13_16_wgs_144_tpt_16_half_op_CI_CI_sbcc_twdbase6_3step_dirReg
; %bb.0:
	s_load_dwordx2 s[28:29], s[4:5], 0x0
	s_load_dwordx8 s[8:15], s[4:5], 0x8
	s_load_dwordx4 s[20:23], s[4:5], 0x60
	s_load_dwordx2 s[2:3], s[4:5], 0x28
	s_movk_i32 s0, 0xc0
	v_cmp_gt_u32_e32 vcc, s0, v0
	s_and_saveexec_b64 s[4:5], vcc
	s_cbranch_execz .LBB0_3
; %bb.1:
	v_add_co_u32_e32 v1, vcc, 0xffffff70, v0
	v_lshlrev_b32_e32 v5, 2, v0
	v_addc_co_u32_e64 v2, s[0:1], 0, -1, vcc
	s_waitcnt lgkmcnt(0)
	v_mov_b32_e32 v4, s9
	v_add_co_u32_e32 v3, vcc, s8, v5
	v_add_u32_e32 v5, 0, v5
	v_addc_co_u32_e32 v4, vcc, 0, v4, vcc
	v_add_u32_e32 v5, 0x1d40, v5
	s_mov_b64 s[8:9], 0
.LBB0_2:                                ; =>This Inner Loop Header: Depth=1
	global_load_dword v6, v[3:4], off
	v_add_co_u32_e32 v1, vcc, 0x90, v1
	v_addc_co_u32_e32 v2, vcc, 0, v2, vcc
	v_cmp_lt_u64_e64 s[0:1], 47, v[1:2]
	v_add_co_u32_e32 v3, vcc, 0x240, v3
	v_addc_co_u32_e32 v4, vcc, 0, v4, vcc
	s_or_b64 s[8:9], s[0:1], s[8:9]
	s_waitcnt vmcnt(0)
	ds_write_b32 v5, v6
	v_add_u32_e32 v5, 0x240, v5
	s_andn2_b64 exec, exec, s[8:9]
	s_cbranch_execnz .LBB0_2
.LBB0_3:
	s_or_b64 exec, exec, s[4:5]
	s_waitcnt lgkmcnt(0)
	s_load_dwordx2 s[8:9], s[12:13], 0x8
	s_mov_b32 s7, 0
	s_waitcnt lgkmcnt(0)
	s_add_u32 s0, s8, -1
	s_addc_u32 s1, s9, -1
	s_add_u32 s4, 0, 0x71c4fc00
	s_addc_u32 s5, 0, 0x7c
	s_mul_hi_u32 s17, s4, -9
	s_add_i32 s5, s5, 0x1c71c6a0
	s_sub_i32 s17, s17, s4
	s_mul_i32 s24, s5, -9
	s_mul_i32 s16, s4, -9
	s_add_i32 s17, s17, s24
	s_mul_hi_u32 s18, s5, s16
	s_mul_i32 s19, s5, s16
	s_mul_i32 s25, s4, s17
	s_mul_hi_u32 s16, s4, s16
	s_mul_hi_u32 s24, s4, s17
	s_add_u32 s16, s16, s25
	s_addc_u32 s24, 0, s24
	s_add_u32 s16, s16, s19
	s_mul_hi_u32 s25, s5, s17
	s_addc_u32 s16, s24, s18
	s_addc_u32 s18, s25, 0
	s_mul_i32 s17, s5, s17
	s_add_u32 s16, s16, s17
	v_mov_b32_e32 v1, s16
	s_addc_u32 s17, 0, s18
	v_add_co_u32_e32 v1, vcc, s4, v1
	s_cmp_lg_u64 vcc, 0
	s_addc_u32 s4, s5, s17
	v_readfirstlane_b32 s17, v1
	s_mul_i32 s16, s0, s4
	s_mul_hi_u32 s18, s0, s17
	s_mul_hi_u32 s5, s0, s4
	s_add_u32 s16, s18, s16
	s_addc_u32 s5, 0, s5
	s_mul_hi_u32 s19, s1, s17
	s_mul_i32 s17, s1, s17
	s_add_u32 s16, s16, s17
	s_mul_hi_u32 s18, s1, s4
	s_addc_u32 s5, s5, s19
	s_addc_u32 s16, s18, 0
	s_mul_i32 s4, s1, s4
	s_add_u32 s4, s5, s4
	s_addc_u32 s5, 0, s16
	s_add_u32 s16, s4, 1
	s_addc_u32 s17, s5, 0
	s_add_u32 s18, s4, 2
	s_mul_i32 s24, s5, 9
	s_mul_hi_u32 s25, s4, 9
	s_addc_u32 s19, s5, 0
	s_add_i32 s25, s25, s24
	s_mul_i32 s24, s4, 9
	v_mov_b32_e32 v1, s24
	v_sub_co_u32_e32 v1, vcc, s0, v1
	s_cmp_lg_u64 vcc, 0
	s_subb_u32 s0, s1, s25
	v_subrev_co_u32_e32 v2, vcc, 9, v1
	s_cmp_lg_u64 vcc, 0
	s_subb_u32 s1, s0, 0
	v_readfirstlane_b32 s24, v2
	s_cmp_gt_u32 s24, 8
	s_cselect_b32 s24, -1, 0
	s_cmp_eq_u32 s1, 0
	s_cselect_b32 s1, s24, -1
	s_cmp_lg_u32 s1, 0
	s_cselect_b32 s1, s18, s16
	s_cselect_b32 s16, s19, s17
	v_readfirstlane_b32 s17, v1
	s_cmp_gt_u32 s17, 8
	s_cselect_b32 s17, -1, 0
	s_cmp_eq_u32 s0, 0
	s_cselect_b32 s0, s17, -1
	s_cmp_lg_u32 s0, 0
	s_cselect_b32 s1, s1, s4
	s_cselect_b32 s0, s16, s5
	s_add_u32 s34, s1, 1
	s_addc_u32 s35, s0, 0
	v_mov_b32_e32 v1, s34
	v_mov_b32_e32 v2, s35
	v_cmp_lt_u64_e32 vcc, s[6:7], v[1:2]
	s_mov_b64 s[4:5], 0
	s_cbranch_vccnz .LBB0_5
; %bb.4:
	v_cvt_f32_u32_e32 v1, s34
	s_sub_i32 s0, 0, s34
	v_rcp_iflag_f32_e32 v1, v1
	v_mul_f32_e32 v1, 0x4f7ffffe, v1
	v_cvt_u32_f32_e32 v1, v1
	v_readfirstlane_b32 s1, v1
	s_mul_i32 s0, s0, s1
	s_mul_hi_u32 s0, s1, s0
	s_add_i32 s1, s1, s0
	s_mul_hi_u32 s0, s6, s1
	s_mul_i32 s4, s0, s34
	s_sub_i32 s4, s6, s4
	s_add_i32 s1, s0, 1
	s_sub_i32 s5, s4, s34
	s_cmp_ge_u32 s4, s34
	s_cselect_b32 s0, s1, s0
	s_cselect_b32 s4, s5, s4
	s_add_i32 s1, s0, 1
	s_cmp_ge_u32 s4, s34
	s_cselect_b32 s4, s1, s0
	s_mov_b32 s5, s7
.LBB0_5:
	s_mul_i32 s0, s4, s35
	s_mul_hi_u32 s1, s4, s34
	s_add_i32 s1, s1, s0
	s_mul_i32 s0, s4, s34
	s_load_dwordx4 s[24:27], s[14:15], 0x0
	s_load_dwordx4 s[16:19], s[2:3], 0x0
	s_sub_u32 s50, s6, s0
	s_subb_u32 s0, 0, s1
	s_mul_i32 s0, s0, 9
	s_mul_hi_u32 s49, s50, 9
	s_add_i32 s49, s49, s0
	s_mul_i32 s50, s50, 9
	s_waitcnt lgkmcnt(0)
	s_mul_i32 s0, s26, s49
	s_mul_hi_u32 s1, s26, s50
	s_add_i32 s0, s1, s0
	s_mul_i32 s1, s27, s50
	s_add_i32 s31, s0, s1
	s_mul_i32 s0, s18, s49
	s_mul_hi_u32 s1, s18, s50
	s_add_i32 s0, s1, s0
	s_mul_i32 s1, s19, s50
	s_add_i32 s33, s0, s1
	v_cmp_lt_u64_e64 s[0:1], s[10:11], 3
	s_mul_i32 s30, s26, s50
	s_mul_i32 s48, s18, s50
	s_and_b64 vcc, exec, s[0:1]
	s_cbranch_vccnz .LBB0_15
; %bb.6:
	s_add_u32 s36, s2, 16
	s_addc_u32 s37, s3, 0
	s_add_u32 s38, s14, 16
	s_addc_u32 s39, s15, 0
	s_add_u32 s12, s12, 16
	v_mov_b32_e32 v1, s10
	s_addc_u32 s13, s13, 0
	s_mov_b64 s[40:41], 2
	s_mov_b32 s42, 0
	v_mov_b32_e32 v2, s11
.LBB0_7:                                ; =>This Inner Loop Header: Depth=1
	s_load_dwordx2 s[44:45], s[12:13], 0x0
	s_waitcnt lgkmcnt(0)
	s_or_b64 s[0:1], s[4:5], s[44:45]
	s_mov_b32 s43, s1
	s_cmp_lg_u64 s[42:43], 0
	s_cbranch_scc0 .LBB0_12
; %bb.8:                                ;   in Loop: Header=BB0_7 Depth=1
	v_cvt_f32_u32_e32 v3, s44
	v_cvt_f32_u32_e32 v4, s45
	s_sub_u32 s0, 0, s44
	s_subb_u32 s1, 0, s45
	v_mac_f32_e32 v3, 0x4f800000, v4
	v_rcp_f32_e32 v3, v3
	v_mul_f32_e32 v3, 0x5f7ffffc, v3
	v_mul_f32_e32 v4, 0x2f800000, v3
	v_trunc_f32_e32 v4, v4
	v_mac_f32_e32 v3, 0xcf800000, v4
	v_cvt_u32_f32_e32 v4, v4
	v_cvt_u32_f32_e32 v3, v3
	v_readfirstlane_b32 s43, v4
	v_readfirstlane_b32 s46, v3
	s_mul_i32 s47, s0, s43
	s_mul_hi_u32 s52, s0, s46
	s_mul_i32 s51, s1, s46
	s_add_i32 s47, s52, s47
	s_mul_i32 s53, s0, s46
	s_add_i32 s47, s47, s51
	s_mul_hi_u32 s51, s46, s47
	s_mul_i32 s52, s46, s47
	s_mul_hi_u32 s46, s46, s53
	s_add_u32 s46, s46, s52
	s_addc_u32 s51, 0, s51
	s_mul_hi_u32 s54, s43, s53
	s_mul_i32 s53, s43, s53
	s_add_u32 s46, s46, s53
	s_mul_hi_u32 s52, s43, s47
	s_addc_u32 s46, s51, s54
	s_addc_u32 s51, s52, 0
	s_mul_i32 s47, s43, s47
	s_add_u32 s46, s46, s47
	s_addc_u32 s47, 0, s51
	v_add_co_u32_e32 v3, vcc, s46, v3
	s_cmp_lg_u64 vcc, 0
	s_addc_u32 s43, s43, s47
	v_readfirstlane_b32 s47, v3
	s_mul_i32 s46, s0, s43
	s_mul_hi_u32 s51, s0, s47
	s_add_i32 s46, s51, s46
	s_mul_i32 s1, s1, s47
	s_add_i32 s46, s46, s1
	s_mul_i32 s0, s0, s47
	s_mul_hi_u32 s51, s43, s0
	s_mul_i32 s52, s43, s0
	s_mul_i32 s54, s47, s46
	s_mul_hi_u32 s0, s47, s0
	s_mul_hi_u32 s53, s47, s46
	s_add_u32 s0, s0, s54
	s_addc_u32 s47, 0, s53
	s_add_u32 s0, s0, s52
	s_mul_hi_u32 s1, s43, s46
	s_addc_u32 s0, s47, s51
	s_addc_u32 s1, s1, 0
	s_mul_i32 s46, s43, s46
	s_add_u32 s0, s0, s46
	s_addc_u32 s1, 0, s1
	v_add_co_u32_e32 v3, vcc, s0, v3
	s_cmp_lg_u64 vcc, 0
	s_addc_u32 s0, s43, s1
	v_readfirstlane_b32 s46, v3
	s_mul_i32 s43, s4, s0
	s_mul_hi_u32 s47, s4, s46
	s_mul_hi_u32 s1, s4, s0
	s_add_u32 s43, s47, s43
	s_addc_u32 s1, 0, s1
	s_mul_hi_u32 s51, s5, s46
	s_mul_i32 s46, s5, s46
	s_add_u32 s43, s43, s46
	s_mul_hi_u32 s47, s5, s0
	s_addc_u32 s1, s1, s51
	s_addc_u32 s43, s47, 0
	s_mul_i32 s0, s5, s0
	s_add_u32 s46, s1, s0
	s_addc_u32 s43, 0, s43
	s_mul_i32 s0, s44, s43
	s_mul_hi_u32 s1, s44, s46
	s_add_i32 s0, s1, s0
	s_mul_i32 s1, s45, s46
	s_add_i32 s47, s0, s1
	s_mul_i32 s1, s44, s46
	v_mov_b32_e32 v3, s1
	s_sub_i32 s0, s5, s47
	v_sub_co_u32_e32 v3, vcc, s4, v3
	s_cmp_lg_u64 vcc, 0
	s_subb_u32 s51, s0, s45
	v_subrev_co_u32_e64 v4, s[0:1], s44, v3
	s_cmp_lg_u64 s[0:1], 0
	s_subb_u32 s0, s51, 0
	s_cmp_ge_u32 s0, s45
	v_readfirstlane_b32 s51, v4
	s_cselect_b32 s1, -1, 0
	s_cmp_ge_u32 s51, s44
	s_cselect_b32 s51, -1, 0
	s_cmp_eq_u32 s0, s45
	s_cselect_b32 s0, s51, s1
	s_add_u32 s1, s46, 1
	s_addc_u32 s51, s43, 0
	s_add_u32 s52, s46, 2
	s_addc_u32 s53, s43, 0
	s_cmp_lg_u32 s0, 0
	s_cselect_b32 s0, s52, s1
	s_cselect_b32 s1, s53, s51
	s_cmp_lg_u64 vcc, 0
	s_subb_u32 s47, s5, s47
	s_cmp_ge_u32 s47, s45
	v_readfirstlane_b32 s52, v3
	s_cselect_b32 s51, -1, 0
	s_cmp_ge_u32 s52, s44
	s_cselect_b32 s52, -1, 0
	s_cmp_eq_u32 s47, s45
	s_cselect_b32 s47, s52, s51
	s_cmp_lg_u32 s47, 0
	s_cselect_b32 s1, s1, s43
	s_cselect_b32 s0, s0, s46
	s_cbranch_execnz .LBB0_10
.LBB0_9:                                ;   in Loop: Header=BB0_7 Depth=1
	v_cvt_f32_u32_e32 v3, s44
	s_sub_i32 s0, 0, s44
	v_rcp_iflag_f32_e32 v3, v3
	v_mul_f32_e32 v3, 0x4f7ffffe, v3
	v_cvt_u32_f32_e32 v3, v3
	v_readfirstlane_b32 s1, v3
	s_mul_i32 s0, s0, s1
	s_mul_hi_u32 s0, s1, s0
	s_add_i32 s1, s1, s0
	s_mul_hi_u32 s0, s4, s1
	s_mul_i32 s43, s0, s44
	s_sub_i32 s43, s4, s43
	s_add_i32 s1, s0, 1
	s_sub_i32 s46, s43, s44
	s_cmp_ge_u32 s43, s44
	s_cselect_b32 s0, s1, s0
	s_cselect_b32 s43, s46, s43
	s_add_i32 s1, s0, 1
	s_cmp_ge_u32 s43, s44
	s_cselect_b32 s0, s1, s0
	s_mov_b32 s1, s42
.LBB0_10:                               ;   in Loop: Header=BB0_7 Depth=1
	s_mul_i32 s35, s44, s35
	s_mul_hi_u32 s43, s44, s34
	s_add_i32 s35, s43, s35
	s_mul_i32 s43, s45, s34
	s_add_i32 s35, s35, s43
	s_mul_i32 s43, s0, s45
	s_mul_hi_u32 s45, s0, s44
	s_load_dwordx2 s[46:47], s[38:39], 0x0
	s_add_i32 s43, s45, s43
	s_mul_i32 s45, s1, s44
	s_mul_i32 s34, s44, s34
	s_add_i32 s43, s43, s45
	s_mul_i32 s44, s0, s44
	s_sub_u32 s44, s4, s44
	s_subb_u32 s43, s5, s43
	s_waitcnt lgkmcnt(0)
	s_mul_i32 s4, s46, s43
	s_mul_hi_u32 s5, s46, s44
	s_add_i32 s45, s5, s4
	s_load_dwordx2 s[4:5], s[36:37], 0x0
	s_mul_i32 s47, s47, s44
	s_add_i32 s45, s45, s47
	s_mul_i32 s46, s46, s44
	s_add_u32 s30, s46, s30
	s_addc_u32 s31, s45, s31
	s_waitcnt lgkmcnt(0)
	s_mul_i32 s43, s4, s43
	s_mul_hi_u32 s45, s4, s44
	s_add_i32 s43, s45, s43
	s_mul_i32 s5, s5, s44
	s_add_i32 s43, s43, s5
	s_mul_i32 s4, s4, s44
	s_add_u32 s48, s4, s48
	s_addc_u32 s33, s43, s33
	s_add_u32 s40, s40, 1
	s_addc_u32 s41, s41, 0
	;; [unrolled: 2-line block ×4, first 2 shown]
	v_cmp_ge_u64_e32 vcc, s[40:41], v[1:2]
	s_add_u32 s12, s12, 8
	s_addc_u32 s13, s13, 0
	s_cbranch_vccnz .LBB0_13
; %bb.11:                               ;   in Loop: Header=BB0_7 Depth=1
	s_mov_b64 s[4:5], s[0:1]
	s_branch .LBB0_7
.LBB0_12:                               ;   in Loop: Header=BB0_7 Depth=1
                                        ; implicit-def: $sgpr0_sgpr1
	s_branch .LBB0_9
.LBB0_13:
	v_mov_b32_e32 v1, s34
	v_mov_b32_e32 v2, s35
	v_cmp_lt_u64_e32 vcc, s[6:7], v[1:2]
	s_mov_b64 s[4:5], 0
	s_cbranch_vccnz .LBB0_15
; %bb.14:
	v_cvt_f32_u32_e32 v1, s34
	s_sub_i32 s0, 0, s34
	v_rcp_iflag_f32_e32 v1, v1
	v_mul_f32_e32 v1, 0x4f7ffffe, v1
	v_cvt_u32_f32_e32 v1, v1
	v_readfirstlane_b32 s1, v1
	s_mul_i32 s0, s0, s1
	s_mul_hi_u32 s0, s1, s0
	s_add_i32 s1, s1, s0
	s_mul_hi_u32 s0, s6, s1
	s_mul_i32 s4, s0, s34
	s_sub_i32 s4, s6, s4
	s_add_i32 s1, s0, 1
	s_sub_i32 s5, s4, s34
	s_cmp_ge_u32 s4, s34
	s_cselect_b32 s0, s1, s0
	s_cselect_b32 s4, s5, s4
	s_add_i32 s1, s0, 1
	s_cmp_ge_u32 s4, s34
	s_cselect_b32 s4, s1, s0
.LBB0_15:
	s_mov_b32 s0, 0x1c71c71d
	v_mul_hi_u32 v18, v0, s0
	s_lshl_b64 s[10:11], s[10:11], 3
	s_add_u32 s0, s2, s10
	s_addc_u32 s1, s3, s11
	v_mul_u32_u24_e32 v1, 9, v18
	v_sub_u32_e32 v19, v0, v1
	s_load_dwordx2 s[6:7], s[0:1], 0x0
	v_mov_b32_e32 v2, s49
	v_add_co_u32_e32 v1, vcc, s50, v19
	s_add_u32 s0, s50, 9
	v_mov_b32_e32 v3, s8
	v_addc_co_u32_e32 v2, vcc, 0, v2, vcc
	s_addc_u32 s1, s49, 0
	v_mov_b32_e32 v4, s9
	v_cmp_le_u64_e32 vcc, s[0:1], v[3:4]
	v_cmp_gt_u64_e64 s[0:1], s[8:9], v[1:2]
                                        ; implicit-def: $vgpr9
                                        ; implicit-def: $vgpr7
                                        ; implicit-def: $vgpr5
                                        ; implicit-def: $vgpr3
                                        ; implicit-def: $vgpr4
                                        ; implicit-def: $vgpr6
                                        ; implicit-def: $vgpr8
                                        ; implicit-def: $vgpr10
                                        ; implicit-def: $vgpr16
                                        ; implicit-def: $vgpr15
                                        ; implicit-def: $vgpr11
                                        ; implicit-def: $vgpr12
                                        ; implicit-def: $vgpr13
	s_or_b64 s[2:3], vcc, s[0:1]
	s_and_saveexec_b64 s[8:9], s[2:3]
	s_cbranch_execz .LBB0_17
; %bb.16:
	s_add_u32 s2, s14, s10
	s_addc_u32 s3, s15, s11
	s_load_dwordx2 s[2:3], s[2:3], 0x0
	v_mad_u64_u32 v[2:3], s[10:11], s26, v19, 0
	v_mad_u64_u32 v[4:5], s[10:11], s24, v18, 0
	s_waitcnt lgkmcnt(0)
	s_mul_i32 s3, s3, s4
	s_mul_hi_u32 s5, s2, s4
	s_add_i32 s3, s5, s3
	s_mul_i32 s2, s2, s4
	v_mad_u64_u32 v[6:7], s[10:11], s27, v19, v[3:4]
	v_mov_b32_e32 v3, v5
	s_lshl_b64 s[2:3], s[2:3], 2
	v_mad_u64_u32 v[7:8], s[10:11], s25, v18, v[3:4]
	s_add_u32 s5, s20, s2
	s_addc_u32 s10, s21, s3
	s_lshl_b64 s[2:3], s[30:31], 2
	s_add_u32 s5, s5, s2
	s_addc_u32 s2, s10, s3
	v_add_u32_e32 v9, 16, v18
	v_mov_b32_e32 v3, v6
	v_mov_b32_e32 v5, v7
	;; [unrolled: 1-line block ×3, first 2 shown]
	v_mad_u64_u32 v[6:7], s[2:3], s24, v9, 0
	v_lshlrev_b64 v[2:3], 2, v[2:3]
	v_add_co_u32_e64 v10, s[2:3], s5, v2
	v_addc_co_u32_e64 v11, s[2:3], v8, v3, s[2:3]
	v_lshlrev_b64 v[2:3], 2, v[4:5]
	v_mov_b32_e32 v4, v7
	v_mad_u64_u32 v[4:5], s[2:3], s25, v9, v[4:5]
	v_or_b32_e32 v5, 32, v18
	v_mad_u64_u32 v[8:9], s[2:3], s24, v5, 0
	v_add_co_u32_e64 v20, s[2:3], v10, v2
	v_mov_b32_e32 v7, v4
	v_mov_b32_e32 v4, v9
	v_addc_co_u32_e64 v21, s[2:3], v11, v3, s[2:3]
	v_lshlrev_b64 v[2:3], 2, v[6:7]
	v_mad_u64_u32 v[4:5], s[2:3], s25, v5, v[4:5]
	v_add_u32_e32 v7, 48, v18
	v_mad_u64_u32 v[5:6], s[2:3], s24, v7, 0
	v_add_co_u32_e64 v22, s[2:3], v10, v2
	v_mov_b32_e32 v9, v4
	v_mov_b32_e32 v4, v6
	v_addc_co_u32_e64 v23, s[2:3], v11, v3, s[2:3]
	v_lshlrev_b64 v[2:3], 2, v[8:9]
	v_mad_u64_u32 v[6:7], s[2:3], s25, v7, v[4:5]
	v_or_b32_e32 v9, 64, v18
	v_mad_u64_u32 v[7:8], s[2:3], s24, v9, 0
	v_add_co_u32_e64 v24, s[2:3], v10, v2
	v_mov_b32_e32 v4, v8
	v_addc_co_u32_e64 v25, s[2:3], v11, v3, s[2:3]
	v_lshlrev_b64 v[2:3], 2, v[5:6]
	v_mad_u64_u32 v[4:5], s[2:3], s25, v9, v[4:5]
	v_add_u32_e32 v9, 0x50, v18
	v_mad_u64_u32 v[5:6], s[2:3], s24, v9, 0
	v_add_co_u32_e64 v26, s[2:3], v10, v2
	v_mov_b32_e32 v8, v4
	v_mov_b32_e32 v4, v6
	v_addc_co_u32_e64 v27, s[2:3], v11, v3, s[2:3]
	v_lshlrev_b64 v[2:3], 2, v[7:8]
	v_mad_u64_u32 v[6:7], s[2:3], s25, v9, v[4:5]
	v_or_b32_e32 v9, 0x60, v18
	v_mad_u64_u32 v[7:8], s[2:3], s24, v9, 0
	v_add_co_u32_e64 v28, s[2:3], v10, v2
	;; [unrolled: 15-line block ×5, first 2 shown]
	v_mov_b32_e32 v4, v8
	v_addc_co_u32_e64 v41, s[2:3], v11, v3, s[2:3]
	v_lshlrev_b64 v[2:3], 2, v[5:6]
	v_mad_u64_u32 v[4:5], s[2:3], s25, v9, v[4:5]
	v_add_co_u32_e64 v42, s[2:3], v10, v2
	v_mov_b32_e32 v8, v4
	v_addc_co_u32_e64 v43, s[2:3], v11, v3, s[2:3]
	v_lshlrev_b64 v[2:3], 2, v[7:8]
	v_add_co_u32_e64 v44, s[2:3], v10, v2
	v_addc_co_u32_e64 v45, s[2:3], v11, v3, s[2:3]
	global_load_dword v12, v[20:21], off
	global_load_dword v13, v[22:23], off
	;; [unrolled: 1-line block ×13, first 2 shown]
.LBB0_17:
	s_or_b64 exec, exec, s[8:9]
	s_waitcnt vmcnt(11)
	v_pk_add_f16 v2, v12, v13
	s_waitcnt vmcnt(10)
	v_pk_add_f16 v2, v2, v11
	;; [unrolled: 2-line block ×12, first 2 shown]
	v_pk_add_f16 v13, v13, v15 neg_lo:[0,1] neg_hi:[0,1]
	v_pk_add_f16 v2, v2, v15
	v_mul_f16_e32 v17, 0x3b15, v14
	v_lshrrev_b32_e32 v15, 16, v13
	s_movk_i32 s8, 0x3770
	v_pk_add_f16 v21, v11, v16
	v_pk_add_f16 v16, v11, v16 neg_lo:[0,1] neg_hi:[0,1]
	v_fma_f16 v20, v15, s8, v17
	s_movk_i32 s5, 0x3a95
	v_mul_f16_e32 v22, 0x388b, v21
	v_lshrrev_b32_e32 v23, 16, v16
	v_add_f16_e32 v20, v12, v20
	v_fma_f16 v11, v23, s5, v22
	v_add_f16_e32 v11, v11, v20
	v_pk_add_f16 v20, v9, v10
	v_pk_add_f16 v24, v9, v10 neg_lo:[0,1] neg_hi:[0,1]
	s_movk_i32 s2, 0x3bf1
	v_mul_f16_e32 v25, 0x2fb7, v20
	v_lshrrev_b32_e32 v26, 16, v24
	v_pk_add_f16 v27, v7, v8
	v_pk_add_f16 v28, v7, v8 neg_lo:[0,1] neg_hi:[0,1]
	s_movk_i32 s3, 0x3b7b
	v_fma_f16 v9, v26, s2, v25
	v_mul_f16_e32 v29, 0xb5ac, v27
	v_lshrrev_b32_e32 v30, 16, v28
	v_pk_add_f16 v31, v5, v6
	v_pk_add_f16 v32, v5, v6 neg_lo:[0,1] neg_hi:[0,1]
	s_movk_i32 s9, 0x394e
	v_add_f16_e32 v9, v9, v11
	v_fma_f16 v7, v30, s3, v29
	v_mul_f16_e32 v33, 0xb9fd, v31
	v_lshrrev_b32_e32 v34, 16, v32
	v_pk_add_f16 v35, v3, v4
	v_pk_add_f16 v36, v3, v4 neg_lo:[0,1] neg_hi:[0,1]
	s_movk_i32 s10, 0x33a8
	v_add_f16_e32 v7, v7, v9
	v_fma_f16 v5, v34, s9, v33
	v_mul_f16_e32 v37, 0xbbc4, v35
	v_lshrrev_b32_e32 v38, 16, v36
	v_mul_f16_e32 v6, 0x388b, v14
	v_add_f16_e32 v5, v5, v7
	v_fma_f16 v3, v38, s10, v37
	v_fma_f16 v4, v15, s5, v6
	v_mul_f16_e32 v7, 0xb5ac, v21
	v_add_f16_e32 v3, v3, v5
	v_add_f16_e32 v4, v12, v4
	v_fma_f16 v5, v23, s3, v7
	v_mul_f16_e32 v8, 0x2fb7, v14
	v_add_f16_e32 v4, v5, v4
	v_fma_f16 v5, v15, s2, v8
	v_mul_f16_e32 v9, 0xbbc4, v21
	v_add_f16_e32 v5, v12, v5
	v_fma_f16 v10, v23, s10, v9
	v_add_f16_e32 v5, v10, v5
	v_mul_f16_e32 v10, 0xbbc4, v20
	v_fma_f16 v11, v26, s10, v10
	v_add_f16_e32 v4, v11, v4
	s_mov_b32 s12, 0xbb7b
	v_mul_f16_e32 v11, 0xb5ac, v20
	v_fma_f16 v39, v26, s12, v11
	s_mov_b32 s20, 0xba95
	v_add_f16_e32 v5, v39, v5
	s_mov_b32 s15, 0xb94e
	v_mul_f16_e32 v39, 0xb9fd, v27
	v_fma_f16 v6, v15, s20, v6
	v_fma_f16 v40, v30, s15, v39
	s_mov_b32 s11, 0xbbf1
	v_add_f16_e32 v6, v12, v6
	v_fma_f16 v7, v23, s12, v7
	v_add_f16_e32 v4, v40, v4
	s_mov_b32 s21, 0xb770
	v_mul_f16_e32 v40, 0x3b15, v27
	v_add_f16_e32 v6, v7, v6
	v_fma_f16 v7, v15, s11, v8
	s_mov_b32 s13, 0xb3a8
	v_fma_f16 v41, v30, s21, v40
	v_add_f16_e32 v7, v12, v7
	v_fma_f16 v8, v23, s13, v9
	v_add_f16_e32 v5, v41, v5
	v_mul_f16_e32 v41, 0x2fb7, v31
	v_add_f16_e32 v7, v8, v7
	v_fma_f16 v8, v26, s13, v10
	v_fma_f16 v42, v34, s11, v41
	v_add_f16_e32 v6, v8, v6
	v_fma_f16 v8, v26, s3, v11
	v_add_f16_e32 v4, v42, v4
	v_mul_f16_e32 v42, 0x388b, v31
	v_add_f16_e32 v7, v8, v7
	v_fma_f16 v8, v30, s9, v39
	;; [unrolled: 7-line block ×4, first 2 shown]
	v_add_f16_e32 v7, v7, v6
	v_fma_f16 v6, v38, s15, v44
	v_add_f16_e32 v6, v6, v8
	v_mul_f16_e32 v8, 0xb5ac, v14
	v_fma_f16 v9, v15, s3, v8
	v_mul_f16_e32 v10, 0xb9fd, v21
	v_fma_f16 v8, v15, s12, v8
	v_fma_f16 v11, v23, s15, v10
	v_add_f16_e32 v8, v12, v8
	v_fma_f16 v10, v23, s9, v10
	s_mov_b32 s24, 0xb94ebb7b
	v_add_f16_e32 v8, v10, v8
	s_mov_b32 s14, 0xb5acb9fd
	v_pk_mul_f16 v10, v13, s24
	s_mov_b32 s25, 0x3bf1394e
	v_add_f16_e32 v9, v12, v9
	v_pk_fma_f16 v39, v14, s14, v10 op_sel:[0,0,1] op_sel_hi:[1,1,0]
	v_pk_fma_f16 v10, v14, s14, v10 op_sel:[0,0,1] op_sel_hi:[1,1,0] neg_lo:[0,0,1] neg_hi:[0,0,1]
	s_mov_b32 s14, 0xffff
	s_mov_b32 s24, 0xb9fd2fb7
	v_pk_mul_f16 v40, v16, s25
	v_add_f16_e32 v9, v11, v9
	v_bfi_b32 v11, s14, v39, v10
	v_pk_fma_f16 v41, v21, s24, v40 op_sel:[0,0,1] op_sel_hi:[1,1,0]
	v_pk_fma_f16 v40, v21, s24, v40 op_sel:[0,0,1] op_sel_hi:[1,1,0] neg_lo:[0,0,1] neg_hi:[0,0,1]
	v_pk_add_f16 v11, v12, v11
	v_bfi_b32 v42, s14, v41, v40
	v_pk_add_f16 v11, v42, v11
	v_mul_f16_e32 v42, 0x3b15, v20
	v_fma_f16 v43, v26, s21, v42
	v_fma_f16 v42, v26, s8, v42
	s_mov_b32 s25, 0xba953770
	v_add_f16_e32 v8, v42, v8
	s_mov_b32 s24, 0x3b15388b
	v_pk_mul_f16 v42, v24, s25
	v_add_f16_e32 v9, v43, v9
	v_pk_fma_f16 v43, v20, s24, v42 op_sel:[0,0,1] op_sel_hi:[1,1,0]
	v_pk_fma_f16 v42, v20, s24, v42 op_sel:[0,0,1] op_sel_hi:[1,1,0] neg_lo:[0,0,1] neg_hi:[0,0,1]
	v_fma_f16 v45, v38, s9, v44
	v_bfi_b32 v44, s14, v43, v42
	v_pk_add_f16 v11, v44, v11
	v_mul_f16_e32 v44, 0x2fb7, v27
	v_add_f16_e32 v5, v45, v5
	v_fma_f16 v45, v30, s2, v44
	v_fma_f16 v44, v30, s11, v44
	s_mov_b32 s25, 0x33a8bbf1
	v_add_f16_e32 v8, v44, v8
	s_mov_b32 s24, 0x2fb7bbc4
	v_pk_mul_f16 v44, v28, s25
	v_add_f16_e32 v9, v45, v9
	v_pk_fma_f16 v45, v27, s24, v44 op_sel:[0,0,1] op_sel_hi:[1,1,0]
	v_pk_fma_f16 v44, v27, s24, v44 op_sel:[0,0,1] op_sel_hi:[1,1,0] neg_lo:[0,0,1] neg_hi:[0,0,1]
	v_bfi_b32 v46, s14, v45, v44
	v_pk_add_f16 v11, v46, v11
	v_mul_f16_e32 v46, 0xbbc4, v31
	v_fma_f16 v47, v34, s13, v46
	v_fma_f16 v46, v34, s10, v46
	s_mov_b32 s25, 0x377033a8
	v_add_f16_e32 v10, v12, v10
	v_add_f16_e32 v8, v46, v8
	s_mov_b32 s24, 0xbbc43b15
	v_pk_mul_f16 v46, v32, s25
	v_add_f16_e32 v10, v40, v10
	v_add_f16_e32 v9, v47, v9
	v_pk_fma_f16 v47, v31, s24, v46 op_sel:[0,0,1] op_sel_hi:[1,1,0]
	v_pk_fma_f16 v46, v31, s24, v46 op_sel:[0,0,1] op_sel_hi:[1,1,0] neg_lo:[0,0,1] neg_hi:[0,0,1]
	v_add_f16_e32 v10, v42, v10
	v_bfi_b32 v48, s14, v47, v46
	v_add_f16_e32 v10, v44, v10
	v_mul_f16_e32 v40, 0x388b, v35
	v_pk_add_f16 v48, v48, v11
	v_add_f16_e32 v11, v46, v10
	v_fma_f16 v10, v38, s20, v40
	s_mov_b32 s25, 0xbb7b3a95
	v_add_f16_e32 v10, v10, v9
	s_mov_b32 s24, 0x388bb5ac
	v_pk_mul_f16 v9, v36, s25
	v_pk_fma_f16 v42, v35, s24, v9 op_sel:[0,0,1] op_sel_hi:[1,1,0] neg_lo:[0,0,1] neg_hi:[0,0,1]
	v_pk_fma_f16 v44, v35, s24, v9 op_sel:[0,0,1] op_sel_hi:[1,1,0]
	v_fma_f16 v9, v38, s5, v40
	v_mul_f16_e32 v40, 0xbbc4, v14
	v_add_f16_e32 v11, v42, v11
	v_add_f16_e32 v9, v9, v8
	v_bfi_b32 v8, s14, v44, v42
	v_fma_f16 v17, v15, s21, v17
	v_fma_f16 v42, v15, s10, v40
	;; [unrolled: 1-line block ×3, first 2 shown]
	s_movk_i32 s24, 0x3b15
	v_lshrrev_b32_e32 v14, 16, v14
	v_mul_f16_e32 v40, 0xb770, v13
	v_pk_add_f16 v8, v8, v48
	v_fma_f16 v46, v14, s24, v40
	s_movk_i32 s25, 0x388b
	v_mul_f16_e32 v48, 0xba95, v13
	s_movk_i32 s10, 0x2fb7
	v_mul_f16_e32 v50, 0xbbf1, v13
	s_mov_b32 s26, 0xb9fd
	v_mul_f16_e32 v52, 0xb94e, v13
	s_mov_b32 s27, 0xbbc4
	v_mul_f16_e32 v13, 0xb3a8, v13
	v_fma_f16 v40, v14, s24, -v40
	v_fma_f16 v49, v14, s25, v48
	v_fma_f16 v48, v14, s25, -v48
	v_fma_f16 v51, v14, s10, v50
	;; [unrolled: 2-line block ×4, first 2 shown]
	v_fma_f16 v13, v14, s27, -v13
	v_add_f16_sdwa v14, v12, v46 dst_sel:DWORD dst_unused:UNUSED_PAD src0_sel:WORD_1 src1_sel:DWORD
	v_lshrrev_b32_e32 v46, 16, v21
	v_mul_f16_e32 v55, 0xba95, v16
	v_add_f16_e32 v17, v12, v17
	v_fma_f16 v22, v23, s20, v22
	v_add_f16_e32 v17, v22, v17
	v_add_f16_sdwa v22, v12, v40 dst_sel:DWORD dst_unused:UNUSED_PAD src0_sel:WORD_1 src1_sel:DWORD
	v_fma_f16 v40, v46, s25, -v55
	v_add_f16_e32 v22, v40, v22
	v_add_f16_sdwa v40, v12, v49 dst_sel:DWORD dst_unused:UNUSED_PAD src0_sel:WORD_1 src1_sel:DWORD
	s_mov_b32 s30, 0xb5ac
	v_mul_f16_e32 v49, 0xbb7b, v16
	v_fma_f16 v56, v46, s25, v55
	v_fma_f16 v55, v46, s30, v49
	v_add_f16_sdwa v48, v12, v48 dst_sel:DWORD dst_unused:UNUSED_PAD src0_sel:WORD_1 src1_sel:DWORD
	v_fma_f16 v49, v46, s30, -v49
	v_add_f16_e32 v48, v49, v48
	v_add_f16_sdwa v49, v12, v51 dst_sel:DWORD dst_unused:UNUSED_PAD src0_sel:WORD_1 src1_sel:DWORD
	v_mul_f16_e32 v51, 0xb3a8, v16
	v_add_f16_e32 v40, v55, v40
	v_fma_f16 v55, v46, s27, v51
	v_add_f16_sdwa v50, v12, v50 dst_sel:DWORD dst_unused:UNUSED_PAD src0_sel:WORD_1 src1_sel:DWORD
	v_fma_f16 v51, v46, s27, -v51
	v_add_f16_e32 v50, v51, v50
	v_add_f16_sdwa v51, v12, v53 dst_sel:DWORD dst_unused:UNUSED_PAD src0_sel:WORD_1 src1_sel:DWORD
	v_mul_f16_e32 v53, 0x3bf1, v16
	v_add_f16_e32 v49, v55, v49
	v_fma_f16 v55, v46, s10, v53
	v_add_f16_sdwa v52, v12, v52 dst_sel:DWORD dst_unused:UNUSED_PAD src0_sel:WORD_1 src1_sel:DWORD
	v_fma_f16 v53, v46, s10, -v53
	v_mul_f16_e32 v21, 0x3b15, v21
	v_add_f16_e32 v52, v53, v52
	v_add_f16_e32 v42, v12, v42
	v_fma_f16 v53, v23, s21, v21
	v_mul_f16_e32 v16, 0x3770, v16
	v_add_f16_e32 v42, v53, v42
	v_add_f16_sdwa v53, v12, v54 dst_sel:DWORD dst_unused:UNUSED_PAD src0_sel:WORD_1 src1_sel:DWORD
	v_fma_f16 v54, v46, s24, v16
	v_fma_f16 v21, v23, s8, v21
	v_add_f16_e32 v15, v12, v15
	v_fma_f16 v16, v46, s24, -v16
	v_add_f16_sdwa v13, v12, v13 dst_sel:DWORD dst_unused:UNUSED_PAD src0_sel:WORD_1 src1_sel:DWORD
	v_add_f16_e32 v15, v21, v15
	v_add_f16_e32 v13, v16, v13
	v_lshrrev_b32_e32 v16, 16, v20
	v_mul_f16_e32 v21, 0xbbf1, v24
	v_add_f16_e32 v14, v56, v14
	v_fma_f16 v23, v16, s10, v21
	v_fma_f16 v21, v16, s10, -v21
	v_add_f16_e32 v14, v23, v14
	v_fma_f16 v23, v26, s11, v25
	v_add_f16_e32 v21, v21, v22
	v_mul_f16_e32 v22, 0xb3a8, v24
	v_add_f16_e32 v17, v23, v17
	v_fma_f16 v23, v16, s27, v22
	v_mul_f16_e32 v25, 0x3b7b, v24
	v_add_f16_e32 v23, v23, v40
	v_fma_f16 v40, v16, s30, v25
	v_mul_f16_e32 v20, 0xb9fd, v20
	v_fma_f16 v22, v16, s27, -v22
	v_add_f16_e32 v40, v40, v49
	v_mul_f16_e32 v46, 0xba95, v24
	v_fma_f16 v49, v26, s9, v20
	v_mul_f16_e32 v24, 0xb94e, v24
	v_add_f16_e32 v22, v22, v48
	v_fma_f16 v25, v16, s30, -v25
	v_fma_f16 v48, v16, s25, v46
	v_fma_f16 v46, v16, s25, -v46
	v_add_f16_e32 v42, v49, v42
	v_fma_f16 v49, v16, s26, v24
	v_fma_f16 v20, v26, s15, v20
	v_fma_f16 v16, v16, s26, -v24
	v_add_f16_e32 v15, v20, v15
	v_add_f16_e32 v13, v16, v13
	v_lshrrev_b32_e32 v16, 16, v27
	v_mul_f16_e32 v20, 0xbb7b, v28
	v_fma_f16 v24, v16, s30, v20
	v_fma_f16 v20, v16, s30, -v20
	v_add_f16_e32 v14, v24, v14
	v_fma_f16 v24, v30, s12, v29
	v_add_f16_e32 v20, v20, v21
	v_mul_f16_e32 v21, 0x394e, v28
	v_add_f16_e32 v17, v24, v17
	v_fma_f16 v24, v16, s26, v21
	v_fma_f16 v21, v16, s26, -v21
	v_add_f16_e32 v21, v21, v22
	v_mul_f16_e32 v22, 0x3770, v28
	v_add_f16_e32 v25, v25, v50
	v_add_f16_e32 v23, v24, v23
	v_fma_f16 v24, v16, s24, v22
	v_fma_f16 v22, v16, s24, -v22
	v_add_f16_e32 v22, v22, v25
	v_mul_f16_e32 v25, 0x33a8, v28
	v_mul_f16_e32 v27, 0x388b, v27
	;; [unrolled: 1-line block ×3, first 2 shown]
	v_add_f16_e32 v24, v24, v40
	v_fma_f16 v26, v16, s27, v25
	v_fma_f16 v25, v16, s27, -v25
	v_fma_f16 v29, v30, s20, v27
	v_fma_f16 v40, v16, s25, v28
	;; [unrolled: 1-line block ×3, first 2 shown]
	v_fma_f16 v16, v16, s25, -v28
	v_add_f16_e32 v15, v27, v15
	v_add_f16_e32 v13, v16, v13
	v_lshrrev_b32_e32 v16, 16, v31
	v_mul_f16_e32 v27, 0xb94e, v32
	v_fma_f16 v28, v16, s26, v27
	v_fma_f16 v27, v16, s26, -v27
	v_add_f16_e32 v14, v28, v14
	v_fma_f16 v28, v34, s15, v33
	v_add_f16_e32 v20, v27, v20
	v_mul_f16_e32 v27, 0x3bf1, v32
	v_add_f16_e32 v17, v28, v17
	v_fma_f16 v28, v16, s10, v27
	v_fma_f16 v27, v16, s10, -v27
	v_add_f16_e32 v21, v27, v21
	v_mul_f16_e32 v27, 0xba95, v32
	v_add_f16_e32 v51, v55, v51
	v_add_f16_e32 v23, v28, v23
	v_fma_f16 v28, v16, s25, v27
	v_fma_f16 v27, v16, s25, -v27
	v_add_f16_e32 v48, v48, v51
	v_add_f16_e32 v22, v27, v22
	v_mul_f16_e32 v27, 0x3770, v32
	v_add_f16_e32 v46, v46, v52
	v_add_f16_e32 v26, v26, v48
	;; [unrolled: 1-line block ×3, first 2 shown]
	v_fma_f16 v28, v16, s24, v27
	v_add_f16_e32 v25, v25, v46
	v_add_f16_e32 v33, v28, v26
	v_fma_f16 v26, v16, s24, -v27
	v_add_f16_e32 v29, v29, v42
	v_add_f16_e32 v42, v26, v25
	v_mul_f16_e32 v25, 0xb5ac, v31
	v_fma_f16 v26, v34, s3, v25
	v_add_f16_e32 v31, v26, v29
	v_mul_f16_e32 v26, 0xbb7b, v32
	v_fma_f16 v27, v16, s30, v26
	v_fma_f16 v16, v16, s30, -v26
	v_fma_f16 v25, v34, s12, v25
	v_add_f16_e32 v13, v16, v13
	v_lshrrev_b32_e32 v16, 16, v35
	v_mul_f16_e32 v26, 0xb3a8, v36
	v_add_f16_e32 v15, v25, v15
	v_fma_f16 v25, v16, s27, v26
	v_add_f16_sdwa v12, v12, v39 dst_sel:DWORD dst_unused:UNUSED_PAD src0_sel:WORD_1 src1_sel:WORD_1
	v_add_f16_e32 v25, v25, v14
	v_fma_f16 v14, v16, s27, -v26
	v_add_f16_sdwa v12, v41, v12 dst_sel:DWORD dst_unused:UNUSED_PAD src0_sel:WORD_1 src1_sel:DWORD
	v_add_f16_e32 v20, v14, v20
	v_mul_f16_e32 v14, 0x3770, v36
	v_add_f16_sdwa v12, v43, v12 dst_sel:DWORD dst_unused:UNUSED_PAD src0_sel:WORD_1 src1_sel:DWORD
	v_fma_f16 v26, v16, s24, v14
	v_fma_f16 v14, v16, s24, -v14
	v_add_f16_sdwa v12, v45, v12 dst_sel:DWORD dst_unused:UNUSED_PAD src0_sel:WORD_1 src1_sel:DWORD
	v_add_f16_e32 v53, v54, v53
	v_add_f16_e32 v21, v14, v21
	v_mul_f16_e32 v14, 0xb94e, v36
	v_add_f16_sdwa v12, v47, v12 dst_sel:DWORD dst_unused:UNUSED_PAD src0_sel:WORD_1 src1_sel:DWORD
	v_add_f16_e32 v49, v49, v53
	v_add_f16_e32 v26, v26, v23
	v_fma_f16 v23, v16, s26, v14
	v_fma_f16 v14, v16, s26, -v14
	v_add_f16_sdwa v30, v44, v12 dst_sel:DWORD dst_unused:UNUSED_PAD src0_sel:WORD_1 src1_sel:DWORD
	v_mul_f16_e32 v12, 0xbb7b, v36
	v_add_f16_e32 v40, v40, v49
	v_add_f16_e32 v28, v23, v24
	;; [unrolled: 1-line block ×3, first 2 shown]
	v_fma_f16 v14, v16, s30, v12
	v_add_f16_e32 v29, v27, v40
	v_add_f16_e32 v27, v14, v33
	v_fma_f16 v12, v16, s30, -v12
	v_mul_f16_e32 v24, 0x3bf1, v36
	v_mul_f16_e32 v14, 0x2fb7, v35
	v_add_f16_e32 v22, v12, v42
	v_fma_f16 v12, v16, s10, v24
	v_fma_f16 v32, v38, s11, v14
	;; [unrolled: 1-line block ×3, first 2 shown]
	v_fma_f16 v16, v16, s10, -v24
	s_movk_i32 s2, 0x1d4
	v_add_f16_e32 v29, v12, v29
	v_fma_f16 v12, v38, s13, v37
	v_add_f16_e32 v14, v32, v31
	v_add_f16_e32 v32, v16, v13
	v_mad_u32_u24 v13, v18, s2, 0
	v_add_f16_e32 v12, v12, v17
	v_lshl_add_u32 v16, v19, 2, v13
	v_pack_b32_f16 v17, v3, v25
	ds_write2_b32 v16, v2, v17 offset1:9
	v_pack_b32_f16 v17, v4, v26
	v_pack_b32_f16 v24, v5, v28
	v_add_f16_e32 v15, v33, v15
	ds_write2_b32 v16, v17, v24 offset0:18 offset1:27
	v_pack_b32_f16 v17, v10, v30
	v_pack_b32_f16 v24, v11, v27
	ds_write2_b32 v16, v17, v24 offset0:36 offset1:45
	v_pack_b32_f16 v17, v14, v29
	v_pack_b32_f16 v24, v15, v32
	ds_write2_b32 v16, v17, v24 offset0:54 offset1:63
	v_pack_b32_f16 v17, v8, v22
	v_bfi_b32 v24, s14, v9, v8
	ds_write2_b32 v16, v17, v24 offset0:72 offset1:81
	v_pack_b32_f16 v17, v6, v23
	v_pack_b32_f16 v24, v7, v21
	s_movk_i32 s2, 0x75
	ds_write2_b32 v16, v17, v24 offset0:90 offset1:99
	v_lshrrev_b32_e32 v24, 16, v8
	v_pack_b32_f16 v17, v12, v20
	v_cmp_gt_u32_e64 s[2:3], s2, v0
	ds_write_b32 v16, v17 offset:432
	s_waitcnt lgkmcnt(0)
	s_barrier
	s_waitcnt lgkmcnt(0)
                                        ; implicit-def: $vgpr0
                                        ; implicit-def: $vgpr31
                                        ; implicit-def: $vgpr33
                                        ; implicit-def: $vgpr16
	s_and_saveexec_b64 s[8:9], s[2:3]
	s_cbranch_execz .LBB0_19
; %bb.18:
	v_mul_i32_i24_e32 v0, 0xfffffe50, v18
	v_lshlrev_b32_e32 v2, 2, v19
	v_add3_u32 v0, v13, v0, v2
	v_add_u32_e32 v6, 0xe00, v0
	ds_read2_b32 v[8:9], v6 offset0:40 offset1:157
	v_add_u32_e32 v6, 0x600, v0
	ds_read2_b32 v[10:11], v6 offset0:84 offset1:201
	v_add_u32_e32 v6, 0xa00, v0
	ds_read2_b32 v[2:3], v0 offset1:117
	v_add_u32_e32 v4, 0x200, v0
	ds_read2_b32 v[14:15], v6 offset0:62 offset1:179
	v_add_u32_e32 v6, 0x1200, v0
	v_add_u32_e32 v12, 0x1400, v0
	;; [unrolled: 1-line block ×3, first 2 shown]
	ds_read2_b32 v[4:5], v4 offset0:106 offset1:223
	ds_read2_b32 v[6:7], v6 offset0:18 offset1:135
	;; [unrolled: 1-line block ×4, first 2 shown]
	s_waitcnt lgkmcnt(7)
	v_lshrrev_b32_e32 v22, 16, v8
	v_lshrrev_b32_e32 v24, 16, v9
	s_waitcnt lgkmcnt(2)
	v_lshrrev_b32_e32 v23, 16, v6
	v_lshrrev_b32_e32 v21, 16, v7
	;; [unrolled: 3-line block ×4, first 2 shown]
	v_lshrrev_b32_e32 v25, 16, v3
	v_lshrrev_b32_e32 v26, 16, v4
	;; [unrolled: 1-line block ×7, first 2 shown]
.LBB0_19:
	s_or_b64 exec, exec, s[8:9]
	s_mov_b32 s5, 0x13b13b14
	v_mul_hi_u32 v34, v18, s5
	s_mul_i32 s5, s7, s4
	s_mul_hi_u32 s7, s6, s4
	s_mul_i32 s4, s6, s4
	v_mul_u32_u24_e32 v34, 13, v34
	v_sub_u32_e32 v49, v18, v34
	v_mul_u32_u24_e32 v34, 15, v49
	v_lshlrev_b32_e32 v50, 2, v34
	global_load_dwordx4 v[34:37], v50, s[28:29]
	global_load_dwordx4 v[38:41], v50, s[28:29] offset:16
	global_load_dwordx4 v[42:45], v50, s[28:29] offset:32
	global_load_dwordx3 v[46:48], v50, s[28:29] offset:48
	v_lshrrev_b32_e32 v50, 16, v2
	s_add_i32 s7, s7, s5
	s_add_u32 s6, s4, s48
	s_mov_b32 s4, 0xb9a8
	s_movk_i32 s5, 0x39a8
	s_mov_b32 s8, 0xbb64
	s_movk_i32 s10, 0x361f
	;; [unrolled: 2-line block ×3, first 2 shown]
	s_addc_u32 s7, s7, s33
	s_waitcnt vmcnt(3)
	v_mul_f16_sdwa v53, v26, v35 dst_sel:DWORD dst_unused:UNUSED_PAD src0_sel:DWORD src1_sel:WORD_1
	v_mul_f16_sdwa v54, v4, v35 dst_sel:DWORD dst_unused:UNUSED_PAD src0_sel:DWORD src1_sel:WORD_1
	v_mul_f16_sdwa v55, v28, v36 dst_sel:DWORD dst_unused:UNUSED_PAD src0_sel:DWORD src1_sel:WORD_1
	v_mul_f16_sdwa v56, v5, v36 dst_sel:DWORD dst_unused:UNUSED_PAD src0_sel:DWORD src1_sel:WORD_1
	v_mul_f16_sdwa v51, v25, v34 dst_sel:DWORD dst_unused:UNUSED_PAD src0_sel:DWORD src1_sel:WORD_1
	v_mul_f16_sdwa v52, v3, v34 dst_sel:DWORD dst_unused:UNUSED_PAD src0_sel:DWORD src1_sel:WORD_1
	v_mul_f16_sdwa v57, v30, v37 dst_sel:DWORD dst_unused:UNUSED_PAD src0_sel:DWORD src1_sel:WORD_1
	s_waitcnt vmcnt(2)
	v_mul_f16_sdwa v59, v27, v38 dst_sel:DWORD dst_unused:UNUSED_PAD src0_sel:DWORD src1_sel:WORD_1
	v_fma_f16 v4, v4, v35, -v53
	v_fma_f16 v5, v5, v36, -v55
	v_mul_f16_sdwa v53, v11, v38 dst_sel:DWORD dst_unused:UNUSED_PAD src0_sel:DWORD src1_sel:WORD_1
	v_fma_f16 v26, v26, v35, v54
	v_mul_f16_sdwa v35, v32, v40 dst_sel:DWORD dst_unused:UNUSED_PAD src0_sel:DWORD src1_sel:WORD_1
	v_fma_f16 v28, v28, v36, v56
	v_mul_f16_sdwa v36, v15, v40 dst_sel:DWORD dst_unused:UNUSED_PAD src0_sel:DWORD src1_sel:WORD_1
	v_mul_f16_sdwa v58, v10, v37 dst_sel:DWORD dst_unused:UNUSED_PAD src0_sel:DWORD src1_sel:WORD_1
	;; [unrolled: 1-line block ×3, first 2 shown]
	v_fma_f16 v25, v25, v34, v52
	v_mul_f16_sdwa v52, v14, v39 dst_sel:DWORD dst_unused:UNUSED_PAD src0_sel:DWORD src1_sel:WORD_1
	v_fma_f16 v3, v3, v34, -v51
	v_fma_f16 v10, v10, v37, -v57
	v_mul_f16_sdwa v34, v8, v41 dst_sel:DWORD dst_unused:UNUSED_PAD src0_sel:DWORD src1_sel:WORD_1
	v_fma_f16 v11, v11, v38, -v59
	s_waitcnt vmcnt(1)
	v_mul_f16_sdwa v57, v6, v43 dst_sel:DWORD dst_unused:UNUSED_PAD src0_sel:DWORD src1_sel:WORD_1
	v_fma_f16 v15, v15, v40, -v35
	v_fma_f16 v27, v27, v38, v53
	v_mul_f16_sdwa v38, v12, v45 dst_sel:DWORD dst_unused:UNUSED_PAD src0_sel:DWORD src1_sel:WORD_1
	v_fma_f16 v32, v32, v40, v36
	s_waitcnt vmcnt(0)
	v_mul_f16_sdwa v40, v16, v47 dst_sel:DWORD dst_unused:UNUSED_PAD src0_sel:DWORD src1_sel:WORD_1
	v_fma_f16 v30, v30, v37, v58
	v_mul_f16_sdwa v54, v22, v41 dst_sel:DWORD dst_unused:UNUSED_PAD src0_sel:DWORD src1_sel:WORD_1
	v_mul_f16_sdwa v56, v23, v43 dst_sel:DWORD dst_unused:UNUSED_PAD src0_sel:DWORD src1_sel:WORD_1
	v_fma_f16 v14, v14, v39, -v55
	v_mul_f16_sdwa v55, v20, v45 dst_sel:DWORD dst_unused:UNUSED_PAD src0_sel:DWORD src1_sel:WORD_1
	v_fma_f16 v29, v29, v39, v52
	v_fma_f16 v22, v22, v41, v34
	v_mul_f16_sdwa v34, v31, v47 dst_sel:DWORD dst_unused:UNUSED_PAD src0_sel:DWORD src1_sel:WORD_1
	v_fma_f16 v23, v23, v43, v57
	v_fma_f16 v20, v20, v45, v38
	;; [unrolled: 1-line block ×3, first 2 shown]
	v_sub_f16_e32 v22, v50, v22
	v_sub_f16_e32 v20, v30, v20
	v_sub_f16_e32 v23, v26, v23
	v_sub_f16_e32 v31, v29, v31
	v_fma_f16 v8, v8, v41, -v54
	v_fma_f16 v6, v6, v43, -v56
	;; [unrolled: 1-line block ×3, first 2 shown]
	v_fma_f16 v34, v50, 2.0, -v22
	v_fma_f16 v30, v30, 2.0, -v20
	;; [unrolled: 1-line block ×4, first 2 shown]
	v_mul_f16_sdwa v51, v9, v42 dst_sel:DWORD dst_unused:UNUSED_PAD src0_sel:DWORD src1_sel:WORD_1
	v_mul_f16_sdwa v35, v7, v44 dst_sel:DWORD dst_unused:UNUSED_PAD src0_sel:DWORD src1_sel:WORD_1
	;; [unrolled: 1-line block ×6, first 2 shown]
	v_fma_f16 v12, v12, v45, -v55
	v_sub_f16_e32 v8, v2, v8
	v_sub_f16_e32 v6, v4, v6
	;; [unrolled: 1-line block ×4, first 2 shown]
	v_mul_f16_sdwa v37, v24, v42 dst_sel:DWORD dst_unused:UNUSED_PAD src0_sel:DWORD src1_sel:WORD_1
	v_mul_f16_sdwa v58, v21, v44 dst_sel:DWORD dst_unused:UNUSED_PAD src0_sel:DWORD src1_sel:WORD_1
	v_fma_f16 v24, v24, v42, v51
	v_fma_f16 v21, v21, v44, v35
	v_fma_f16 v13, v13, v46, -v39
	v_fma_f16 v0, v0, v46, v36
	v_fma_f16 v17, v17, v48, -v41
	v_fma_f16 v33, v33, v48, v52
	v_sub_f16_e32 v12, v10, v12
	v_sub_f16_e32 v16, v14, v16
	v_fma_f16 v34, v34, 2.0, -v30
	v_sub_f16_e32 v20, v8, v20
	v_fma_f16 v26, v26, 2.0, -v29
	v_sub_f16_e32 v31, v6, v31
	v_fma_f16 v9, v9, v42, -v37
	v_fma_f16 v7, v7, v44, -v58
	v_fma_f16 v2, v2, 2.0, -v8
	v_fma_f16 v10, v10, 2.0, -v12
	;; [unrolled: 1-line block ×4, first 2 shown]
	v_sub_f16_e32 v24, v25, v24
	v_sub_f16_e32 v13, v11, v13
	v_sub_f16_e32 v0, v27, v0
	v_sub_f16_e32 v21, v28, v21
	v_sub_f16_e32 v17, v15, v17
	v_sub_f16_e32 v33, v32, v33
	v_add_f16_e32 v12, v22, v12
	v_fma_f16 v8, v8, 2.0, -v20
	v_add_f16_e32 v16, v23, v16
	v_fma_f16 v6, v6, 2.0, -v31
	v_sub_f16_e32 v35, v34, v26
	v_sub_f16_e32 v9, v3, v9
	v_fma_f16 v25, v25, 2.0, -v24
	v_fma_f16 v11, v11, 2.0, -v13
	;; [unrolled: 1-line block ×3, first 2 shown]
	v_sub_f16_e32 v7, v5, v7
	v_fma_f16 v28, v28, 2.0, -v21
	v_fma_f16 v15, v15, 2.0, -v17
	v_fma_f16 v32, v32, 2.0, -v33
	v_fma_f16 v22, v22, 2.0, -v12
	v_sub_f16_e32 v14, v4, v14
	v_fma_f16 v23, v23, 2.0, -v16
	v_add_f16_e32 v13, v24, v13
	v_add_f16_e32 v17, v21, v17
	v_fma_f16 v26, v34, 2.0, -v35
	v_fma_f16 v34, v6, s4, v8
	v_fma_f16 v3, v3, 2.0, -v9
	v_fma_f16 v5, v5, 2.0, -v7
	;; [unrolled: 1-line block ×3, first 2 shown]
	v_sub_f16_e32 v27, v25, v27
	v_sub_f16_e32 v0, v9, v0
	v_fma_f16 v24, v24, 2.0, -v13
	v_sub_f16_e32 v32, v28, v32
	v_sub_f16_e32 v33, v7, v33
	v_fma_f16 v21, v21, 2.0, -v17
	v_fma_f16 v36, v23, s4, v22
	v_fma_f16 v37, v23, s4, v34
	v_add_f16_e32 v14, v30, v14
	v_fma_f16 v34, v16, s5, v12
	v_sub_f16_e32 v10, v2, v10
	v_sub_f16_e32 v11, v3, v11
	v_fma_f16 v25, v25, 2.0, -v27
	v_fma_f16 v9, v9, 2.0, -v0
	v_sub_f16_e32 v15, v5, v15
	v_fma_f16 v28, v28, 2.0, -v32
	v_fma_f16 v7, v7, 2.0, -v33
	v_fma_f16 v6, v6, s5, v36
	v_fma_f16 v23, v30, 2.0, -v14
	v_fma_f16 v30, v31, s5, v20
	v_fma_f16 v36, v31, s5, v34
	;; [unrolled: 1-line block ×3, first 2 shown]
	v_fma_f16 v2, v2, 2.0, -v10
	v_fma_f16 v3, v3, 2.0, -v11
	;; [unrolled: 1-line block ×3, first 2 shown]
	v_fma_f16 v16, v16, s4, v30
	v_sub_f16_e32 v28, v25, v28
	v_fma_f16 v30, v7, s4, v9
	v_fma_f16 v7, v7, s5, v31
	v_sub_f16_e32 v4, v2, v4
	v_fma_f16 v22, v22, 2.0, -v6
	v_sub_f16_e32 v5, v3, v5
	v_fma_f16 v25, v25, 2.0, -v28
	v_fma_f16 v21, v21, s4, v30
	v_fma_f16 v24, v24, 2.0, -v7
	v_fma_f16 v30, v33, s5, v0
	v_fma_f16 v2, v2, 2.0, -v4
	v_fma_f16 v8, v8, 2.0, -v37
	v_sub_f16_e32 v29, v10, v29
	v_fma_f16 v3, v3, 2.0, -v5
	v_fma_f16 v9, v9, 2.0, -v21
	v_sub_f16_e32 v31, v11, v32
	v_add_f16_e32 v15, v27, v15
	v_fma_f16 v32, v17, s5, v13
	v_fma_f16 v17, v17, s4, v30
	v_sub_f16_e32 v25, v26, v25
	v_fma_f16 v30, v24, s8, v22
	v_fma_f16 v10, v10, 2.0, -v29
	v_fma_f16 v11, v11, 2.0, -v31
	;; [unrolled: 1-line block ×3, first 2 shown]
	v_sub_f16_e32 v39, v2, v3
	v_fma_f16 v3, v26, 2.0, -v25
	v_fma_f16 v26, v9, s8, v8
	v_fma_f16 v41, v9, s10, v30
	;; [unrolled: 1-line block ×4, first 2 shown]
	v_fma_f16 v9, v22, 2.0, -v41
	v_fma_f16 v22, v11, s4, v10
	v_fma_f16 v26, v27, s4, v23
	v_fma_f16 v12, v12, 2.0, -v36
	v_fma_f16 v13, v13, 2.0, -v38
	v_fma_f16 v24, v27, s4, v22
	v_fma_f16 v27, v11, s5, v26
	v_fma_f16 v20, v20, 2.0, -v16
	v_fma_f16 v0, v0, 2.0, -v17
	;; [unrolled: 1-line block ×3, first 2 shown]
	v_fma_f16 v23, v13, s9, v12
	v_fma_f16 v22, v0, s9, v20
	v_fma_f16 v26, v0, s11, v23
	v_fma_f16 v0, v21, s10, v37
	v_fma_f16 v32, v7, s8, v0
	v_fma_f16 v0, v31, s5, v29
	v_fma_f16 v22, v13, s8, v22
	v_add_f16_e32 v34, v35, v5
	v_fma_f16 v30, v15, s4, v0
	v_fma_f16 v0, v17, s11, v16
	v_fma_f16 v13, v20, 2.0, -v22
	v_sub_f16_e32 v23, v4, v28
	v_fma_f16 v20, v35, 2.0, -v34
	v_fma_f16 v28, v38, s9, v0
	v_mul_lo_u32 v0, v49, v1
	v_mul_lo_u32 v35, v1, 13
	v_fma_f16 v5, v4, 2.0, -v23
	v_fma_f16 v4, v7, s10, v6
	v_fma_f16 v33, v21, s11, v4
	;; [unrolled: 1-line block ×5, first 2 shown]
	v_fma_f16 v21, v37, 2.0, -v32
	v_fma_f16 v37, v6, 2.0, -v33
	;; [unrolled: 1-line block ×3, first 2 shown]
	v_fma_f16 v29, v17, s10, v4
	v_and_b32_e32 v4, 63, v0
	v_lshrrev_b32_e32 v6, 4, v0
	v_lshrrev_b32_e32 v1, 10, v0
	v_add_u32_e32 v0, v0, v35
	v_fma_f16 v17, v36, 2.0, -v29
	v_add_u32_e32 v36, v0, v35
	v_fma_f16 v43, v14, 2.0, -v31
	v_lshrrev_b32_e32 v14, 4, v0
	v_lshrrev_b32_e32 v15, 10, v0
	;; [unrolled: 1-line block ×3, first 2 shown]
	s_add_i32 s4, 0, 0x1d40
	v_and_b32_e32 v6, 0xfc, v6
	v_and_b32_e32 v1, 0xfc, v1
	;; [unrolled: 1-line block ×7, first 2 shown]
	v_lshl_add_u32 v4, v4, 2, 0
	v_add_u32_e32 v6, s4, v6
	v_add_u32_e32 v1, s4, v1
	v_lshl_add_u32 v7, v7, 2, 0
	v_add_u32_e32 v14, s4, v14
	v_add_u32_e32 v15, s4, v15
	v_lshl_add_u32 v0, v0, 2, 0
	v_add_u32_e32 v38, s4, v38
	ds_read_b32 v4, v4 offset:7488
	ds_read_b32 v6, v6 offset:256
	;; [unrolled: 1-line block ×8, first 2 shown]
	s_waitcnt lgkmcnt(7)
	v_lshrrev_b32_e32 v0, 16, v4
	s_waitcnt lgkmcnt(6)
	v_mul_f16_sdwa v45, v0, v6 dst_sel:DWORD dst_unused:UNUSED_PAD src0_sel:DWORD src1_sel:WORD_1
	v_fma_f16 v45, v4, v6, -v45
	v_mul_f16_sdwa v4, v4, v6 dst_sel:DWORD dst_unused:UNUSED_PAD src0_sel:DWORD src1_sel:WORD_1
	v_fma_f16 v0, v0, v6, v4
	s_waitcnt lgkmcnt(5)
	v_mul_f16_sdwa v6, v45, v1 dst_sel:DWORD dst_unused:UNUSED_PAD src0_sel:DWORD src1_sel:WORD_1
	v_fma_f16 v2, v2, 2.0, -v39
	v_mul_f16_sdwa v4, v0, v1 dst_sel:DWORD dst_unused:UNUSED_PAD src0_sel:DWORD src1_sel:WORD_1
	v_fma_f16 v0, v1, v0, v6
	v_fma_f16 v4, v1, v45, -v4
	v_mul_f16_e32 v1, v0, v3
	v_mul_f16_e32 v0, v0, v2
	v_fma_f16 v1, v4, v2, -v1
	v_fma_f16 v3, v4, v3, v0
	s_waitcnt lgkmcnt(4)
	v_lshrrev_b32_e32 v0, 16, v7
	s_waitcnt lgkmcnt(3)
	v_mul_f16_sdwa v4, v7, v14 dst_sel:DWORD dst_unused:UNUSED_PAD src0_sel:DWORD src1_sel:WORD_1
	v_mul_f16_sdwa v2, v0, v14 dst_sel:DWORD dst_unused:UNUSED_PAD src0_sel:DWORD src1_sel:WORD_1
	v_fma_f16 v0, v0, v14, v4
	v_fma_f16 v2, v7, v14, -v2
	s_waitcnt lgkmcnt(2)
	v_mul_f16_sdwa v4, v0, v15 dst_sel:DWORD dst_unused:UNUSED_PAD src0_sel:DWORD src1_sel:WORD_1
	v_fma_f16 v4, v15, v2, -v4
	v_mul_f16_sdwa v2, v2, v15 dst_sel:DWORD dst_unused:UNUSED_PAD src0_sel:DWORD src1_sel:WORD_1
	v_fma_f16 v8, v8, 2.0, -v40
	v_fma_f16 v2, v15, v0, v2
	v_mul_f16_e32 v0, v9, v2
	v_mul_f16_e32 v2, v8, v2
	v_fma_f16 v0, v8, v4, -v0
	v_fma_f16 v2, v9, v4, v2
	s_waitcnt lgkmcnt(1)
	v_lshrrev_b32_e32 v4, 16, v44
	v_add_u32_e32 v8, v36, v35
	s_waitcnt lgkmcnt(0)
	v_mul_f16_sdwa v6, v4, v38 dst_sel:DWORD dst_unused:UNUSED_PAD src0_sel:DWORD src1_sel:WORD_1
	v_mul_f16_sdwa v7, v44, v38 dst_sel:DWORD dst_unused:UNUSED_PAD src0_sel:DWORD src1_sel:WORD_1
	v_and_b32_e32 v9, 63, v8
	v_lshrrev_b32_e32 v14, 4, v8
	v_lshrrev_b32_e32 v15, 10, v8
	v_add_u32_e32 v8, v8, v35
	v_fma_f16 v6, v44, v38, -v6
	v_fma_f16 v4, v4, v38, v7
	v_lshrrev_b32_e32 v7, 10, v36
	v_lshrrev_b32_e32 v38, 4, v8
	;; [unrolled: 1-line block ×3, first 2 shown]
	v_add_u32_e32 v45, v8, v35
	v_and_b32_e32 v7, 0xfc, v7
	v_and_b32_e32 v14, 0xfc, v14
	;; [unrolled: 1-line block ×7, first 2 shown]
	v_add_u32_e32 v7, s4, v7
	v_add_u32_e32 v14, s4, v14
	;; [unrolled: 1-line block ×3, first 2 shown]
	v_lshl_add_u32 v36, v36, 2, 0
	v_add_u32_e32 v38, s4, v38
	v_add_u32_e32 v44, s4, v44
	v_lshl_add_u32 v8, v8, 2, 0
	v_lshl_add_u32 v9, v9, 2, 0
	ds_read_b32 v7, v7 offset:512
	ds_read_b32 v46, v9 offset:7488
	;; [unrolled: 1-line block ×8, first 2 shown]
	s_waitcnt lgkmcnt(7)
	v_mul_f16_sdwa v8, v4, v7 dst_sel:DWORD dst_unused:UNUSED_PAD src0_sel:DWORD src1_sel:WORD_1
	v_fma_f16 v8, v7, v6, -v8
	v_mul_f16_sdwa v6, v6, v7 dst_sel:DWORD dst_unused:UNUSED_PAD src0_sel:DWORD src1_sel:WORD_1
	v_fma_f16 v10, v10, 2.0, -v24
	v_fma_f16 v4, v7, v4, v6
	v_mul_f16_e32 v6, v11, v4
	v_mul_f16_e32 v4, v10, v4
	v_fma_f16 v7, v10, v8, -v6
	v_fma_f16 v9, v11, v8, v4
	s_waitcnt lgkmcnt(6)
	v_lshrrev_b32_e32 v4, 16, v46
	s_waitcnt lgkmcnt(5)
	v_mul_f16_sdwa v8, v46, v14 dst_sel:DWORD dst_unused:UNUSED_PAD src0_sel:DWORD src1_sel:WORD_1
	v_mul_f16_sdwa v6, v4, v14 dst_sel:DWORD dst_unused:UNUSED_PAD src0_sel:DWORD src1_sel:WORD_1
	v_fma_f16 v4, v4, v14, v8
	v_fma_f16 v6, v46, v14, -v6
	s_waitcnt lgkmcnt(4)
	v_mul_f16_sdwa v8, v4, v15 dst_sel:DWORD dst_unused:UNUSED_PAD src0_sel:DWORD src1_sel:WORD_1
	v_fma_f16 v8, v15, v6, -v8
	v_mul_f16_sdwa v6, v6, v15 dst_sel:DWORD dst_unused:UNUSED_PAD src0_sel:DWORD src1_sel:WORD_1
	v_fma_f16 v12, v12, 2.0, -v26
	v_fma_f16 v4, v15, v4, v6
	v_mul_f16_e32 v6, v12, v4
	v_mul_f16_e32 v4, v13, v4
	v_fma_f16 v6, v13, v8, -v6
	v_fma_f16 v8, v12, v8, v4
	s_waitcnt lgkmcnt(3)
	v_lshrrev_b32_e32 v4, 16, v36
	s_waitcnt lgkmcnt(2)
	v_mul_f16_sdwa v11, v36, v38 dst_sel:DWORD dst_unused:UNUSED_PAD src0_sel:DWORD src1_sel:WORD_1
	v_mul_f16_sdwa v10, v4, v38 dst_sel:DWORD dst_unused:UNUSED_PAD src0_sel:DWORD src1_sel:WORD_1
	v_fma_f16 v4, v4, v38, v11
	v_fma_f16 v10, v36, v38, -v10
	s_waitcnt lgkmcnt(1)
	v_mul_f16_sdwa v11, v4, v44 dst_sel:DWORD dst_unused:UNUSED_PAD src0_sel:DWORD src1_sel:WORD_1
	v_fma_f16 v11, v44, v10, -v11
	v_mul_f16_sdwa v10, v10, v44 dst_sel:DWORD dst_unused:UNUSED_PAD src0_sel:DWORD src1_sel:WORD_1
	v_fma_f16 v10, v44, v4, v10
	v_mul_f16_e32 v4, v20, v10
	v_add_u32_e32 v13, v45, v35
	v_fma_f16 v4, v5, v11, -v4
	v_mul_f16_e32 v5, v5, v10
	v_add_u32_e32 v36, v13, v35
	v_fma_f16 v5, v20, v11, v5
	v_lshrrev_b32_e32 v11, 4, v45
	v_lshrrev_b32_e32 v12, 10, v45
	;; [unrolled: 1-line block ×5, first 2 shown]
	v_and_b32_e32 v11, 0xfc, v11
	v_and_b32_e32 v12, 0xfc, v12
	;; [unrolled: 1-line block ×3, first 2 shown]
	v_lshrrev_b32_e32 v15, 4, v13
	v_and_b32_e32 v20, 0xfc, v20
	v_and_b32_e32 v38, 0xfc, v38
	;; [unrolled: 1-line block ×3, first 2 shown]
	v_add_u32_e32 v11, s4, v11
	v_add_u32_e32 v12, s4, v12
	v_lshl_add_u32 v14, v14, 2, 0
	v_and_b32_e32 v15, 0xfc, v15
	v_add_u32_e32 v20, s4, v20
	v_and_b32_e32 v13, 63, v36
	v_add_u32_e32 v38, s4, v38
	v_add_u32_e32 v44, s4, v44
	s_waitcnt lgkmcnt(0)
	v_lshrrev_b32_e32 v10, 16, v47
	v_add_u32_e32 v15, s4, v15
	v_lshl_add_u32 v13, v13, 2, 0
	ds_read_b32 v11, v11 offset:256
	ds_read_b32 v12, v12 offset:512
	;; [unrolled: 1-line block ×8, first 2 shown]
	s_waitcnt lgkmcnt(7)
	v_mul_f16_sdwa v14, v47, v11 dst_sel:DWORD dst_unused:UNUSED_PAD src0_sel:DWORD src1_sel:WORD_1
	v_mul_f16_sdwa v13, v10, v11 dst_sel:DWORD dst_unused:UNUSED_PAD src0_sel:DWORD src1_sel:WORD_1
	v_fma_f16 v10, v10, v11, v14
	v_fma_f16 v13, v47, v11, -v13
	s_waitcnt lgkmcnt(6)
	v_mul_f16_sdwa v11, v10, v12 dst_sel:DWORD dst_unused:UNUSED_PAD src0_sel:DWORD src1_sel:WORD_1
	v_fma_f16 v11, v12, v13, -v11
	v_mul_f16_sdwa v13, v13, v12 dst_sel:DWORD dst_unused:UNUSED_PAD src0_sel:DWORD src1_sel:WORD_1
	v_fma_f16 v10, v12, v10, v13
	v_mul_f16_e32 v12, v37, v10
	v_mul_f16_e32 v10, v21, v10
	v_fma_f16 v14, v21, v11, -v12
	v_fma_f16 v15, v37, v11, v10
	s_waitcnt lgkmcnt(5)
	v_lshrrev_b32_e32 v10, 16, v45
	s_waitcnt lgkmcnt(4)
	v_mul_f16_sdwa v12, v45, v46 dst_sel:DWORD dst_unused:UNUSED_PAD src0_sel:DWORD src1_sel:WORD_1
	v_mul_f16_sdwa v11, v10, v46 dst_sel:DWORD dst_unused:UNUSED_PAD src0_sel:DWORD src1_sel:WORD_1
	v_fma_f16 v10, v10, v46, v12
	v_fma_f16 v11, v45, v46, -v11
	s_waitcnt lgkmcnt(3)
	v_mul_f16_sdwa v12, v10, v20 dst_sel:DWORD dst_unused:UNUSED_PAD src0_sel:DWORD src1_sel:WORD_1
	v_fma_f16 v12, v20, v11, -v12
	v_mul_f16_sdwa v11, v11, v20 dst_sel:DWORD dst_unused:UNUSED_PAD src0_sel:DWORD src1_sel:WORD_1
	v_fma_f16 v10, v20, v10, v11
	v_mul_f16_e32 v11, v43, v10
	v_mul_f16_e32 v10, v42, v10
	v_fma_f16 v13, v43, v12, v10
	s_waitcnt lgkmcnt(2)
	v_lshrrev_b32_e32 v10, 16, v48
	s_waitcnt lgkmcnt(1)
	v_mul_f16_sdwa v20, v48, v38 dst_sel:DWORD dst_unused:UNUSED_PAD src0_sel:DWORD src1_sel:WORD_1
	v_fma_f16 v11, v42, v12, -v11
	v_mul_f16_sdwa v12, v10, v38 dst_sel:DWORD dst_unused:UNUSED_PAD src0_sel:DWORD src1_sel:WORD_1
	v_fma_f16 v10, v10, v38, v20
	v_fma_f16 v12, v48, v38, -v12
	s_waitcnt lgkmcnt(0)
	v_mul_f16_sdwa v20, v10, v44 dst_sel:DWORD dst_unused:UNUSED_PAD src0_sel:DWORD src1_sel:WORD_1
	v_fma_f16 v20, v44, v12, -v20
	v_mul_f16_sdwa v12, v12, v44 dst_sel:DWORD dst_unused:UNUSED_PAD src0_sel:DWORD src1_sel:WORD_1
	v_fma_f16 v12, v44, v10, v12
	v_fma_f16 v16, v16, 2.0, -v28
	v_mul_f16_e32 v10, v17, v12
	v_fma_f16 v10, v16, v20, -v10
	v_mul_f16_e32 v12, v16, v12
	v_add_u32_e32 v16, v36, v35
	v_fma_f16 v12, v17, v20, v12
	v_and_b32_e32 v17, 63, v16
	v_lshrrev_b32_e32 v20, 4, v16
	v_lshrrev_b32_e32 v21, 10, v16
	v_add_u32_e32 v16, v16, v35
	v_add_u32_e32 v42, v16, v35
	v_lshrrev_b32_e32 v37, 4, v16
	v_lshrrev_b32_e32 v38, 10, v16
	;; [unrolled: 1-line block ×3, first 2 shown]
	v_and_b32_e32 v20, 0xfc, v20
	v_and_b32_e32 v21, 0xfc, v21
	;; [unrolled: 1-line block ×7, first 2 shown]
	v_lshl_add_u32 v17, v17, 2, 0
	v_add_u32_e32 v20, s4, v20
	v_add_u32_e32 v21, s4, v21
	v_lshl_add_u32 v36, v36, 2, 0
	v_add_u32_e32 v37, s4, v37
	v_add_u32_e32 v38, s4, v38
	v_lshl_add_u32 v16, v16, 2, 0
	v_add_u32_e32 v43, s4, v43
	ds_read_b32 v17, v17 offset:7488
	ds_read_b32 v20, v20 offset:256
	;; [unrolled: 1-line block ×8, first 2 shown]
	s_waitcnt lgkmcnt(7)
	v_lshrrev_b32_e32 v16, 16, v17
	s_waitcnt lgkmcnt(6)
	v_mul_f16_sdwa v45, v16, v20 dst_sel:DWORD dst_unused:UNUSED_PAD src0_sel:DWORD src1_sel:WORD_1
	v_fma_f16 v45, v17, v20, -v45
	v_mul_f16_sdwa v17, v17, v20 dst_sel:DWORD dst_unused:UNUSED_PAD src0_sel:DWORD src1_sel:WORD_1
	v_fma_f16 v16, v16, v20, v17
	s_waitcnt lgkmcnt(5)
	v_mul_f16_sdwa v17, v16, v21 dst_sel:DWORD dst_unused:UNUSED_PAD src0_sel:DWORD src1_sel:WORD_1
	v_fma_f16 v20, v21, v45, -v17
	v_mul_f16_sdwa v17, v45, v21 dst_sel:DWORD dst_unused:UNUSED_PAD src0_sel:DWORD src1_sel:WORD_1
	v_fma_f16 v16, v21, v16, v17
	v_mul_f16_e32 v17, v25, v16
	v_mul_f16_e32 v16, v39, v16
	v_fma_f16 v21, v25, v20, v16
	s_waitcnt lgkmcnt(4)
	v_lshrrev_b32_e32 v16, 16, v36
	s_waitcnt lgkmcnt(3)
	v_mul_f16_sdwa v25, v36, v37 dst_sel:DWORD dst_unused:UNUSED_PAD src0_sel:DWORD src1_sel:WORD_1
	v_fma_f16 v17, v39, v20, -v17
	v_mul_f16_sdwa v20, v16, v37 dst_sel:DWORD dst_unused:UNUSED_PAD src0_sel:DWORD src1_sel:WORD_1
	v_fma_f16 v16, v16, v37, v25
	v_fma_f16 v20, v36, v37, -v20
	s_waitcnt lgkmcnt(2)
	v_mul_f16_sdwa v25, v16, v38 dst_sel:DWORD dst_unused:UNUSED_PAD src0_sel:DWORD src1_sel:WORD_1
	v_fma_f16 v25, v38, v20, -v25
	v_mul_f16_sdwa v20, v20, v38 dst_sel:DWORD dst_unused:UNUSED_PAD src0_sel:DWORD src1_sel:WORD_1
	v_fma_f16 v20, v38, v16, v20
	v_mul_f16_e32 v16, v41, v20
	v_mul_f16_e32 v20, v40, v20
	v_fma_f16 v16, v40, v25, -v16
	v_fma_f16 v20, v41, v25, v20
	s_waitcnt lgkmcnt(1)
	v_lshrrev_b32_e32 v25, 16, v44
	v_add_u32_e32 v38, v42, v35
	s_waitcnt lgkmcnt(0)
	v_mul_f16_sdwa v36, v25, v43 dst_sel:DWORD dst_unused:UNUSED_PAD src0_sel:DWORD src1_sel:WORD_1
	v_mul_f16_sdwa v37, v44, v43 dst_sel:DWORD dst_unused:UNUSED_PAD src0_sel:DWORD src1_sel:WORD_1
	v_and_b32_e32 v39, 63, v38
	v_lshrrev_b32_e32 v40, 4, v38
	v_lshrrev_b32_e32 v41, 10, v38
	v_add_u32_e32 v38, v38, v35
	v_fma_f16 v36, v44, v43, -v36
	v_fma_f16 v25, v25, v43, v37
	v_lshrrev_b32_e32 v37, 10, v42
	v_and_b32_e32 v42, 63, v38
	v_lshrrev_b32_e32 v43, 4, v38
	v_lshrrev_b32_e32 v44, 10, v38
	v_add_u32_e32 v38, v38, v35
	v_and_b32_e32 v37, 0xfc, v37
	v_and_b32_e32 v40, 0xfc, v40
	;; [unrolled: 1-line block ×6, first 2 shown]
	v_add_u32_e32 v37, s4, v37
	v_lshl_add_u32 v39, v39, 2, 0
	v_add_u32_e32 v40, s4, v40
	v_add_u32_e32 v41, s4, v41
	v_lshl_add_u32 v42, v42, 2, 0
	v_add_u32_e32 v43, s4, v43
	v_add_u32_e32 v44, s4, v44
	v_lshl_add_u32 v45, v45, 2, 0
	ds_read_b32 v37, v37 offset:512
	ds_read_b32 v39, v39 offset:7488
	ds_read_b32 v40, v40 offset:256
	ds_read_b32 v41, v41 offset:512
	ds_read_b32 v42, v42 offset:7488
	ds_read_b32 v43, v43 offset:256
	ds_read_b32 v44, v44 offset:512
	ds_read_b32 v45, v45 offset:7488
	s_waitcnt lgkmcnt(7)
	v_mul_f16_sdwa v46, v25, v37 dst_sel:DWORD dst_unused:UNUSED_PAD src0_sel:DWORD src1_sel:WORD_1
	v_fma_f16 v46, v37, v36, -v46
	v_mul_f16_sdwa v36, v36, v37 dst_sel:DWORD dst_unused:UNUSED_PAD src0_sel:DWORD src1_sel:WORD_1
	v_fma_f16 v36, v37, v25, v36
	v_mul_f16_e32 v25, v27, v36
	v_fma_f16 v25, v24, v46, -v25
	v_mul_f16_e32 v24, v24, v36
	v_fma_f16 v27, v27, v46, v24
	s_waitcnt lgkmcnt(6)
	v_lshrrev_b32_e32 v24, 16, v39
	s_waitcnt lgkmcnt(5)
	v_mul_f16_sdwa v37, v39, v40 dst_sel:DWORD dst_unused:UNUSED_PAD src0_sel:DWORD src1_sel:WORD_1
	v_mul_f16_sdwa v36, v24, v40 dst_sel:DWORD dst_unused:UNUSED_PAD src0_sel:DWORD src1_sel:WORD_1
	v_fma_f16 v24, v24, v40, v37
	v_fma_f16 v36, v39, v40, -v36
	s_waitcnt lgkmcnt(4)
	v_mul_f16_sdwa v37, v24, v41 dst_sel:DWORD dst_unused:UNUSED_PAD src0_sel:DWORD src1_sel:WORD_1
	v_fma_f16 v37, v41, v36, -v37
	v_mul_f16_sdwa v36, v36, v41 dst_sel:DWORD dst_unused:UNUSED_PAD src0_sel:DWORD src1_sel:WORD_1
	v_fma_f16 v36, v41, v24, v36
	v_mul_f16_e32 v24, v26, v36
	v_fma_f16 v24, v22, v37, -v24
	v_mul_f16_e32 v22, v22, v36
	v_fma_f16 v26, v26, v37, v22
	s_waitcnt lgkmcnt(3)
	v_lshrrev_b32_e32 v22, 16, v42
	s_waitcnt lgkmcnt(2)
	v_mul_f16_sdwa v37, v42, v43 dst_sel:DWORD dst_unused:UNUSED_PAD src0_sel:DWORD src1_sel:WORD_1
	v_mul_f16_sdwa v36, v22, v43 dst_sel:DWORD dst_unused:UNUSED_PAD src0_sel:DWORD src1_sel:WORD_1
	v_fma_f16 v22, v22, v43, v37
	v_fma_f16 v36, v42, v43, -v36
	s_waitcnt lgkmcnt(1)
	v_mul_f16_sdwa v37, v22, v44 dst_sel:DWORD dst_unused:UNUSED_PAD src0_sel:DWORD src1_sel:WORD_1
	v_fma_f16 v37, v44, v36, -v37
	v_mul_f16_sdwa v36, v36, v44 dst_sel:DWORD dst_unused:UNUSED_PAD src0_sel:DWORD src1_sel:WORD_1
	v_fma_f16 v36, v44, v22, v36
	v_mul_f16_e32 v22, v34, v36
	v_fma_f16 v22, v23, v37, -v22
	v_mul_f16_e32 v23, v23, v36
	v_fma_f16 v23, v34, v37, v23
	v_lshrrev_b32_e32 v36, 4, v38
	v_lshrrev_b32_e32 v37, 10, v38
	v_add_u32_e32 v38, v38, v35
	v_add_u32_e32 v35, v38, v35
	v_and_b32_e32 v39, 63, v38
	v_lshrrev_b32_e32 v40, 4, v38
	v_lshrrev_b32_e32 v41, 10, v38
	v_and_b32_e32 v38, 63, v35
	v_lshrrev_b32_e32 v42, 4, v35
	v_lshrrev_b32_e32 v35, 10, v35
	v_and_b32_e32 v36, 0xfc, v36
	v_and_b32_e32 v37, 0xfc, v37
	;; [unrolled: 1-line block ×6, first 2 shown]
	v_add_u32_e32 v36, s4, v36
	v_add_u32_e32 v37, s4, v37
	v_lshl_add_u32 v39, v39, 2, 0
	v_add_u32_e32 v40, s4, v40
	v_add_u32_e32 v41, s4, v41
	v_lshl_add_u32 v38, v38, 2, 0
	v_add_u32_e32 v42, s4, v42
	v_add_u32_e32 v35, s4, v35
	s_waitcnt lgkmcnt(0)
	v_lshrrev_b32_e32 v34, 16, v45
	ds_read_b32 v36, v36 offset:256
	ds_read_b32 v37, v37 offset:512
	;; [unrolled: 1-line block ×8, first 2 shown]
	s_waitcnt lgkmcnt(7)
	v_mul_f16_sdwa v44, v45, v36 dst_sel:DWORD dst_unused:UNUSED_PAD src0_sel:DWORD src1_sel:WORD_1
	v_mul_f16_sdwa v43, v34, v36 dst_sel:DWORD dst_unused:UNUSED_PAD src0_sel:DWORD src1_sel:WORD_1
	v_fma_f16 v34, v34, v36, v44
	v_fma_f16 v43, v45, v36, -v43
	s_waitcnt lgkmcnt(6)
	v_mul_f16_sdwa v36, v34, v37 dst_sel:DWORD dst_unused:UNUSED_PAD src0_sel:DWORD src1_sel:WORD_1
	v_fma_f16 v36, v37, v43, -v36
	v_mul_f16_sdwa v43, v43, v37 dst_sel:DWORD dst_unused:UNUSED_PAD src0_sel:DWORD src1_sel:WORD_1
	v_fma_f16 v37, v37, v34, v43
	v_mul_f16_e32 v34, v33, v37
	v_fma_f16 v34, v32, v36, -v34
	v_mul_f16_e32 v32, v32, v37
	v_fma_f16 v33, v33, v36, v32
	s_waitcnt lgkmcnt(5)
	v_lshrrev_b32_e32 v32, 16, v39
	s_waitcnt lgkmcnt(4)
	v_mul_f16_sdwa v37, v39, v40 dst_sel:DWORD dst_unused:UNUSED_PAD src0_sel:DWORD src1_sel:WORD_1
	v_mul_f16_sdwa v36, v32, v40 dst_sel:DWORD dst_unused:UNUSED_PAD src0_sel:DWORD src1_sel:WORD_1
	v_fma_f16 v32, v32, v40, v37
	v_fma_f16 v36, v39, v40, -v36
	s_waitcnt lgkmcnt(3)
	v_mul_f16_sdwa v37, v32, v41 dst_sel:DWORD dst_unused:UNUSED_PAD src0_sel:DWORD src1_sel:WORD_1
	v_fma_f16 v37, v41, v36, -v37
	v_mul_f16_sdwa v36, v36, v41 dst_sel:DWORD dst_unused:UNUSED_PAD src0_sel:DWORD src1_sel:WORD_1
	v_fma_f16 v36, v41, v32, v36
	v_mul_f16_e32 v32, v31, v36
	v_fma_f16 v32, v30, v37, -v32
	v_mul_f16_e32 v30, v30, v36
	v_fma_f16 v30, v31, v37, v30
	s_waitcnt lgkmcnt(2)
	v_lshrrev_b32_e32 v31, 16, v38
	s_waitcnt lgkmcnt(1)
	v_mul_f16_sdwa v37, v38, v42 dst_sel:DWORD dst_unused:UNUSED_PAD src0_sel:DWORD src1_sel:WORD_1
	v_mul_f16_sdwa v36, v31, v42 dst_sel:DWORD dst_unused:UNUSED_PAD src0_sel:DWORD src1_sel:WORD_1
	v_fma_f16 v31, v31, v42, v37
	v_fma_f16 v36, v38, v42, -v36
	s_waitcnt lgkmcnt(0)
	v_mul_f16_sdwa v37, v31, v35 dst_sel:DWORD dst_unused:UNUSED_PAD src0_sel:DWORD src1_sel:WORD_1
	v_fma_f16 v37, v35, v36, -v37
	v_mul_f16_sdwa v36, v36, v35 dst_sel:DWORD dst_unused:UNUSED_PAD src0_sel:DWORD src1_sel:WORD_1
	v_fma_f16 v35, v35, v31, v36
	v_mul_f16_e32 v31, v29, v35
	v_fma_f16 v31, v28, v37, -v31
	v_mul_f16_e32 v28, v28, v35
	v_fma_f16 v28, v29, v37, v28
	s_and_b64 s[4:5], s[2:3], vcc
	v_add_u32_e32 v37, 13, v18
	v_add_u32_e32 v36, 26, v18
	;; [unrolled: 1-line block ×4, first 2 shown]
	s_and_saveexec_b64 s[8:9], s[4:5]
	s_cbranch_execz .LBB0_21
; %bb.20:
	v_mad_u64_u32 v[38:39], s[4:5], s18, v19, 0
	v_mad_u64_u32 v[40:41], s[4:5], s16, v18, 0
	s_mov_b32 s10, 0x5040100
	v_perm_b32 v46, v2, v0, s10
	v_mad_u64_u32 v[42:43], s[4:5], s19, v19, v[39:40]
	v_mov_b32_e32 v39, v41
	v_mad_u64_u32 v[43:44], s[4:5], s17, v18, v[39:40]
	v_mov_b32_e32 v39, v42
	s_lshl_b64 s[4:5], s[6:7], 2
	s_add_u32 s4, s22, s4
	v_lshlrev_b64 v[38:39], 2, v[38:39]
	s_addc_u32 s5, s23, s5
	v_mov_b32_e32 v41, v43
	v_mov_b32_e32 v42, s5
	v_add_co_u32_e64 v44, s[4:5], s4, v38
	v_addc_co_u32_e64 v45, s[4:5], v42, v39, s[4:5]
	v_lshlrev_b64 v[38:39], 2, v[40:41]
	v_mad_u64_u32 v[40:41], s[4:5], s16, v37, 0
	v_add_co_u32_e64 v38, s[4:5], v44, v38
	v_addc_co_u32_e64 v39, s[4:5], v45, v39, s[4:5]
	v_mad_u64_u32 v[41:42], s[4:5], s17, v37, v[41:42]
	v_perm_b32 v42, v3, v1, s10
	global_store_dword v[38:39], v42, off
	v_lshlrev_b64 v[38:39], 2, v[40:41]
	v_mad_u64_u32 v[40:41], s[4:5], s16, v36, 0
	v_add_co_u32_e64 v38, s[4:5], v44, v38
	v_addc_co_u32_e64 v39, s[4:5], v45, v39, s[4:5]
	v_mad_u64_u32 v[41:42], s[4:5], s17, v36, v[41:42]
	v_mad_u64_u32 v[42:43], s[4:5], s16, v35, 0
	global_store_dword v[38:39], v46, off
	v_lshlrev_b64 v[38:39], 2, v[40:41]
	v_mov_b32_e32 v40, v43
	v_mad_u64_u32 v[40:41], s[4:5], s17, v35, v[40:41]
	v_add_co_u32_e64 v38, s[4:5], v44, v38
	v_addc_co_u32_e64 v39, s[4:5], v45, v39, s[4:5]
	v_perm_b32 v41, v9, v7, s10
	global_store_dword v[38:39], v41, off
	v_mov_b32_e32 v43, v40
	v_mad_u64_u32 v[40:41], s[4:5], s16, v29, 0
	v_lshlrev_b64 v[38:39], 2, v[42:43]
	v_add_u32_e32 v47, 0x41, v18
	v_add_co_u32_e64 v38, s[4:5], v44, v38
	v_addc_co_u32_e64 v39, s[4:5], v45, v39, s[4:5]
	v_mad_u64_u32 v[41:42], s[4:5], s17, v29, v[41:42]
	v_mad_u64_u32 v[42:43], s[4:5], s16, v47, 0
	v_perm_b32 v46, v8, v6, s10
	global_store_dword v[38:39], v46, off
	v_lshlrev_b64 v[38:39], 2, v[40:41]
	v_mov_b32_e32 v40, v43
	v_mad_u64_u32 v[40:41], s[4:5], s17, v47, v[40:41]
	v_add_co_u32_e64 v38, s[4:5], v44, v38
	v_addc_co_u32_e64 v39, s[4:5], v45, v39, s[4:5]
	v_perm_b32 v41, v5, v4, s10
	v_mov_b32_e32 v43, v40
	global_store_dword v[38:39], v41, off
	v_lshlrev_b64 v[38:39], 2, v[42:43]
	v_add_u32_e32 v42, 0x4e, v18
	v_mad_u64_u32 v[40:41], s[4:5], s16, v42, 0
	v_add_co_u32_e64 v38, s[4:5], v44, v38
	v_addc_co_u32_e64 v39, s[4:5], v45, v39, s[4:5]
	v_mad_u64_u32 v[41:42], s[4:5], s17, v42, v[41:42]
	v_add_u32_e32 v47, 0x5b, v18
	v_mad_u64_u32 v[42:43], s[4:5], s16, v47, 0
	v_perm_b32 v46, v15, v14, s10
	global_store_dword v[38:39], v46, off
	v_lshlrev_b64 v[38:39], 2, v[40:41]
	v_mov_b32_e32 v40, v43
	v_mad_u64_u32 v[40:41], s[4:5], s17, v47, v[40:41]
	v_add_co_u32_e64 v38, s[4:5], v44, v38
	v_addc_co_u32_e64 v39, s[4:5], v45, v39, s[4:5]
	v_perm_b32 v41, v13, v11, s10
	v_mov_b32_e32 v43, v40
	global_store_dword v[38:39], v41, off
	v_lshlrev_b64 v[38:39], 2, v[42:43]
	v_add_u32_e32 v42, 0x68, v18
	v_mad_u64_u32 v[40:41], s[4:5], s16, v42, 0
	v_add_co_u32_e64 v38, s[4:5], v44, v38
	v_addc_co_u32_e64 v39, s[4:5], v45, v39, s[4:5]
	v_mad_u64_u32 v[41:42], s[4:5], s17, v42, v[41:42]
	v_add_u32_e32 v47, 0x75, v18
	;; [unrolled: 18-line block ×5, first 2 shown]
	v_mad_u64_u32 v[42:43], s[4:5], s16, v47, 0
	v_perm_b32 v46, v33, v34, s10
	global_store_dword v[38:39], v46, off
	v_lshlrev_b64 v[38:39], 2, v[40:41]
	v_mov_b32_e32 v40, v43
	v_mad_u64_u32 v[40:41], s[4:5], s17, v47, v[40:41]
	v_add_co_u32_e64 v38, s[4:5], v44, v38
	v_addc_co_u32_e64 v39, s[4:5], v45, v39, s[4:5]
	v_perm_b32 v41, v30, v32, s10
	v_mov_b32_e32 v43, v40
	global_store_dword v[38:39], v41, off
	v_lshlrev_b64 v[38:39], 2, v[42:43]
	v_perm_b32 v40, v28, v31, s10
	v_add_co_u32_e64 v38, s[4:5], v44, v38
	v_addc_co_u32_e64 v39, s[4:5], v45, v39, s[4:5]
	global_store_dword v[38:39], v40, off
.LBB0_21:
	s_or_b64 exec, exec, s[8:9]
	s_xor_b64 s[4:5], vcc, -1
	s_and_b64 s[0:1], s[2:3], s[0:1]
	s_and_b64 s[0:1], s[4:5], s[0:1]
	s_and_saveexec_b64 s[2:3], s[0:1]
	s_cbranch_execz .LBB0_23
; %bb.22:
	v_mad_u64_u32 v[38:39], s[0:1], s18, v19, 0
	v_mad_u64_u32 v[40:41], s[0:1], s16, v18, 0
	;; [unrolled: 1-line block ×3, first 2 shown]
	v_mov_b32_e32 v19, v41
	v_mad_u64_u32 v[43:44], s[0:1], s17, v18, v[19:20]
	v_mov_b32_e32 v39, v42
	s_lshl_b64 s[0:1], s[6:7], 2
	s_add_u32 s0, s22, s0
	v_lshlrev_b64 v[38:39], 2, v[38:39]
	s_addc_u32 s1, s23, s1
	v_mov_b32_e32 v41, v43
	v_mov_b32_e32 v19, s1
	v_add_co_u32_e32 v43, vcc, s0, v38
	v_addc_co_u32_e32 v44, vcc, v19, v39, vcc
	v_lshlrev_b64 v[38:39], 2, v[40:41]
	v_mad_u64_u32 v[40:41], s[0:1], s16, v37, 0
	v_add_co_u32_e32 v38, vcc, v43, v38
	v_mov_b32_e32 v19, v41
	v_mad_u64_u32 v[41:42], s[0:1], s17, v37, v[19:20]
	s_mov_b32 s0, 0x5040100
	v_addc_co_u32_e32 v39, vcc, v44, v39, vcc
	v_perm_b32 v1, v3, v1, s0
	global_store_dword v[38:39], v1, off
	v_lshlrev_b64 v[37:38], 2, v[40:41]
	v_mad_u64_u32 v[39:40], s[2:3], s16, v36, 0
	v_perm_b32 v3, v2, v0, s0
	v_add_co_u32_e32 v37, vcc, v43, v37
	v_mov_b32_e32 v0, v40
	v_mad_u64_u32 v[0:1], s[2:3], s17, v36, v[0:1]
	v_mad_u64_u32 v[1:2], s[2:3], s16, v35, 0
	v_addc_co_u32_e32 v38, vcc, v44, v38, vcc
	v_mov_b32_e32 v40, v0
	v_mov_b32_e32 v0, v2
	global_store_dword v[37:38], v3, off
	v_lshlrev_b64 v[36:37], 2, v[39:40]
	v_mad_u64_u32 v[2:3], s[2:3], s17, v35, v[0:1]
	v_add_co_u32_e32 v35, vcc, v43, v36
	v_addc_co_u32_e32 v36, vcc, v44, v37, vcc
	v_perm_b32 v0, v9, v7, s0
	global_store_dword v[35:36], v0, off
	v_lshlrev_b64 v[0:1], 2, v[1:2]
	v_mad_u64_u32 v[2:3], s[2:3], s16, v29, 0
	v_perm_b32 v9, v8, v6, s0
	v_add_u32_e32 v19, 0x41, v18
	v_mad_u64_u32 v[6:7], s[2:3], s17, v29, v[3:4]
	v_mad_u64_u32 v[7:8], s[2:3], s16, v19, 0
	v_add_co_u32_e32 v0, vcc, v43, v0
	v_addc_co_u32_e32 v1, vcc, v44, v1, vcc
	v_mov_b32_e32 v3, v6
	global_store_dword v[0:1], v9, off
	v_lshlrev_b64 v[0:1], 2, v[2:3]
	v_mov_b32_e32 v2, v8
	v_mad_u64_u32 v[2:3], s[2:3], s17, v19, v[2:3]
	v_add_co_u32_e32 v0, vcc, v43, v0
	v_addc_co_u32_e32 v1, vcc, v44, v1, vcc
	v_perm_b32 v3, v5, v4, s0
	v_add_u32_e32 v4, 0x4e, v18
	global_store_dword v[0:1], v3, off
	v_mov_b32_e32 v8, v2
	v_mad_u64_u32 v[2:3], s[2:3], s16, v4, 0
	v_lshlrev_b64 v[0:1], 2, v[7:8]
	v_add_u32_e32 v7, 0x5b, v18
	v_mad_u64_u32 v[3:4], s[2:3], s17, v4, v[3:4]
	v_mad_u64_u32 v[4:5], s[2:3], s16, v7, 0
	v_add_co_u32_e32 v0, vcc, v43, v0
	v_addc_co_u32_e32 v1, vcc, v44, v1, vcc
	v_perm_b32 v6, v15, v14, s0
	global_store_dword v[0:1], v6, off
	v_lshlrev_b64 v[0:1], 2, v[2:3]
	v_mov_b32_e32 v2, v5
	v_mad_u64_u32 v[2:3], s[2:3], s17, v7, v[2:3]
	v_add_co_u32_e32 v0, vcc, v43, v0
	v_addc_co_u32_e32 v1, vcc, v44, v1, vcc
	v_perm_b32 v3, v13, v11, s0
	v_mov_b32_e32 v5, v2
	global_store_dword v[0:1], v3, off
	v_lshlrev_b64 v[0:1], 2, v[4:5]
	v_add_u32_e32 v4, 0x68, v18
	v_mad_u64_u32 v[2:3], s[2:3], s16, v4, 0
	v_add_u32_e32 v7, 0x75, v18
	v_add_co_u32_e32 v0, vcc, v43, v0
	v_mad_u64_u32 v[3:4], s[2:3], s17, v4, v[3:4]
	v_mad_u64_u32 v[4:5], s[2:3], s16, v7, 0
	v_addc_co_u32_e32 v1, vcc, v44, v1, vcc
	v_perm_b32 v6, v12, v10, s0
	global_store_dword v[0:1], v6, off
	v_lshlrev_b64 v[0:1], 2, v[2:3]
	v_mov_b32_e32 v2, v5
	v_mad_u64_u32 v[2:3], s[2:3], s17, v7, v[2:3]
	v_add_co_u32_e32 v0, vcc, v43, v0
	v_addc_co_u32_e32 v1, vcc, v44, v1, vcc
	v_perm_b32 v3, v21, v17, s0
	v_mov_b32_e32 v5, v2
	global_store_dword v[0:1], v3, off
	v_lshlrev_b64 v[0:1], 2, v[4:5]
	v_add_u32_e32 v4, 0x82, v18
	v_mad_u64_u32 v[2:3], s[2:3], s16, v4, 0
	v_add_u32_e32 v7, 0x8f, v18
	v_add_co_u32_e32 v0, vcc, v43, v0
	v_mad_u64_u32 v[3:4], s[2:3], s17, v4, v[3:4]
	v_mad_u64_u32 v[4:5], s[2:3], s16, v7, 0
	;; [unrolled: 18-line block ×4, first 2 shown]
	v_addc_co_u32_e32 v1, vcc, v44, v1, vcc
	v_perm_b32 v6, v33, v34, s0
	global_store_dword v[0:1], v6, off
	v_lshlrev_b64 v[0:1], 2, v[2:3]
	v_mov_b32_e32 v2, v5
	v_mad_u64_u32 v[2:3], s[2:3], s17, v7, v[2:3]
	v_add_co_u32_e32 v0, vcc, v43, v0
	v_addc_co_u32_e32 v1, vcc, v44, v1, vcc
	v_perm_b32 v3, v30, v32, s0
	v_mov_b32_e32 v5, v2
	global_store_dword v[0:1], v3, off
	v_lshlrev_b64 v[0:1], 2, v[4:5]
	v_perm_b32 v2, v28, v31, s0
	v_add_co_u32_e32 v0, vcc, v43, v0
	v_addc_co_u32_e32 v1, vcc, v44, v1, vcc
	global_store_dword v[0:1], v2, off
.LBB0_23:
	s_endpgm
	.section	.rodata,"a",@progbits
	.p2align	6, 0x0
	.amdhsa_kernel fft_rtc_fwd_len208_factors_13_16_wgs_144_tpt_16_half_op_CI_CI_sbcc_twdbase6_3step_dirReg
		.amdhsa_group_segment_fixed_size 0
		.amdhsa_private_segment_fixed_size 0
		.amdhsa_kernarg_size 112
		.amdhsa_user_sgpr_count 6
		.amdhsa_user_sgpr_private_segment_buffer 1
		.amdhsa_user_sgpr_dispatch_ptr 0
		.amdhsa_user_sgpr_queue_ptr 0
		.amdhsa_user_sgpr_kernarg_segment_ptr 1
		.amdhsa_user_sgpr_dispatch_id 0
		.amdhsa_user_sgpr_flat_scratch_init 0
		.amdhsa_user_sgpr_private_segment_size 0
		.amdhsa_uses_dynamic_stack 0
		.amdhsa_system_sgpr_private_segment_wavefront_offset 0
		.amdhsa_system_sgpr_workgroup_id_x 1
		.amdhsa_system_sgpr_workgroup_id_y 0
		.amdhsa_system_sgpr_workgroup_id_z 0
		.amdhsa_system_sgpr_workgroup_info 0
		.amdhsa_system_vgpr_workitem_id 0
		.amdhsa_next_free_vgpr 60
		.amdhsa_next_free_sgpr 55
		.amdhsa_reserve_vcc 1
		.amdhsa_reserve_flat_scratch 0
		.amdhsa_float_round_mode_32 0
		.amdhsa_float_round_mode_16_64 0
		.amdhsa_float_denorm_mode_32 3
		.amdhsa_float_denorm_mode_16_64 3
		.amdhsa_dx10_clamp 1
		.amdhsa_ieee_mode 1
		.amdhsa_fp16_overflow 0
		.amdhsa_exception_fp_ieee_invalid_op 0
		.amdhsa_exception_fp_denorm_src 0
		.amdhsa_exception_fp_ieee_div_zero 0
		.amdhsa_exception_fp_ieee_overflow 0
		.amdhsa_exception_fp_ieee_underflow 0
		.amdhsa_exception_fp_ieee_inexact 0
		.amdhsa_exception_int_div_zero 0
	.end_amdhsa_kernel
	.text
.Lfunc_end0:
	.size	fft_rtc_fwd_len208_factors_13_16_wgs_144_tpt_16_half_op_CI_CI_sbcc_twdbase6_3step_dirReg, .Lfunc_end0-fft_rtc_fwd_len208_factors_13_16_wgs_144_tpt_16_half_op_CI_CI_sbcc_twdbase6_3step_dirReg
                                        ; -- End function
	.section	.AMDGPU.csdata,"",@progbits
; Kernel info:
; codeLenInByte = 12516
; NumSgprs: 59
; NumVgprs: 60
; ScratchSize: 0
; MemoryBound: 0
; FloatMode: 240
; IeeeMode: 1
; LDSByteSize: 0 bytes/workgroup (compile time only)
; SGPRBlocks: 7
; VGPRBlocks: 14
; NumSGPRsForWavesPerEU: 59
; NumVGPRsForWavesPerEU: 60
; Occupancy: 4
; WaveLimiterHint : 1
; COMPUTE_PGM_RSRC2:SCRATCH_EN: 0
; COMPUTE_PGM_RSRC2:USER_SGPR: 6
; COMPUTE_PGM_RSRC2:TRAP_HANDLER: 0
; COMPUTE_PGM_RSRC2:TGID_X_EN: 1
; COMPUTE_PGM_RSRC2:TGID_Y_EN: 0
; COMPUTE_PGM_RSRC2:TGID_Z_EN: 0
; COMPUTE_PGM_RSRC2:TIDIG_COMP_CNT: 0
	.type	__hip_cuid_955e0b575029b057,@object ; @__hip_cuid_955e0b575029b057
	.section	.bss,"aw",@nobits
	.globl	__hip_cuid_955e0b575029b057
__hip_cuid_955e0b575029b057:
	.byte	0                               ; 0x0
	.size	__hip_cuid_955e0b575029b057, 1

	.ident	"AMD clang version 19.0.0git (https://github.com/RadeonOpenCompute/llvm-project roc-6.4.0 25133 c7fe45cf4b819c5991fe208aaa96edf142730f1d)"
	.section	".note.GNU-stack","",@progbits
	.addrsig
	.addrsig_sym __hip_cuid_955e0b575029b057
	.amdgpu_metadata
---
amdhsa.kernels:
  - .args:
      - .actual_access:  read_only
        .address_space:  global
        .offset:         0
        .size:           8
        .value_kind:     global_buffer
      - .address_space:  global
        .offset:         8
        .size:           8
        .value_kind:     global_buffer
      - .offset:         16
        .size:           8
        .value_kind:     by_value
      - .actual_access:  read_only
        .address_space:  global
        .offset:         24
        .size:           8
        .value_kind:     global_buffer
      - .actual_access:  read_only
        .address_space:  global
        .offset:         32
        .size:           8
        .value_kind:     global_buffer
      - .actual_access:  read_only
        .address_space:  global
        .offset:         40
        .size:           8
        .value_kind:     global_buffer
      - .offset:         48
        .size:           8
        .value_kind:     by_value
      - .actual_access:  read_only
        .address_space:  global
        .offset:         56
        .size:           8
        .value_kind:     global_buffer
      - .actual_access:  read_only
        .address_space:  global
        .offset:         64
        .size:           8
        .value_kind:     global_buffer
      - .offset:         72
        .size:           4
        .value_kind:     by_value
      - .actual_access:  read_only
        .address_space:  global
        .offset:         80
        .size:           8
        .value_kind:     global_buffer
      - .actual_access:  read_only
        .address_space:  global
        .offset:         88
        .size:           8
        .value_kind:     global_buffer
      - .actual_access:  read_only
        .address_space:  global
        .offset:         96
        .size:           8
        .value_kind:     global_buffer
      - .actual_access:  write_only
        .address_space:  global
        .offset:         104
        .size:           8
        .value_kind:     global_buffer
    .group_segment_fixed_size: 0
    .kernarg_segment_align: 8
    .kernarg_segment_size: 112
    .language:       OpenCL C
    .language_version:
      - 2
      - 0
    .max_flat_workgroup_size: 144
    .name:           fft_rtc_fwd_len208_factors_13_16_wgs_144_tpt_16_half_op_CI_CI_sbcc_twdbase6_3step_dirReg
    .private_segment_fixed_size: 0
    .sgpr_count:     59
    .sgpr_spill_count: 0
    .symbol:         fft_rtc_fwd_len208_factors_13_16_wgs_144_tpt_16_half_op_CI_CI_sbcc_twdbase6_3step_dirReg.kd
    .uniform_work_group_size: 1
    .uses_dynamic_stack: false
    .vgpr_count:     60
    .vgpr_spill_count: 0
    .wavefront_size: 64
amdhsa.target:   amdgcn-amd-amdhsa--gfx906
amdhsa.version:
  - 1
  - 2
...

	.end_amdgpu_metadata
